;; amdgpu-corpus repo=ROCm/rocFFT kind=compiled arch=gfx906 opt=O3
	.text
	.amdgcn_target "amdgcn-amd-amdhsa--gfx906"
	.amdhsa_code_object_version 6
	.protected	fft_rtc_back_len3125_factors_5_5_5_5_5_wgs_125_tpt_125_halfLds_dp_ip_CI_unitstride_sbrr_dirReg ; -- Begin function fft_rtc_back_len3125_factors_5_5_5_5_5_wgs_125_tpt_125_halfLds_dp_ip_CI_unitstride_sbrr_dirReg
	.globl	fft_rtc_back_len3125_factors_5_5_5_5_5_wgs_125_tpt_125_halfLds_dp_ip_CI_unitstride_sbrr_dirReg
	.p2align	8
	.type	fft_rtc_back_len3125_factors_5_5_5_5_5_wgs_125_tpt_125_halfLds_dp_ip_CI_unitstride_sbrr_dirReg,@function
fft_rtc_back_len3125_factors_5_5_5_5_5_wgs_125_tpt_125_halfLds_dp_ip_CI_unitstride_sbrr_dirReg: ; @fft_rtc_back_len3125_factors_5_5_5_5_5_wgs_125_tpt_125_halfLds_dp_ip_CI_unitstride_sbrr_dirReg
; %bb.0:
	s_load_dwordx2 s[2:3], s[4:5], 0x50
	s_load_dwordx4 s[8:11], s[4:5], 0x0
	s_load_dwordx2 s[12:13], s[4:5], 0x18
	v_mul_u32_u24_e32 v1, 0x20d, v0
	v_add_u32_sdwa v5, s6, v1 dst_sel:DWORD dst_unused:UNUSED_PAD src0_sel:DWORD src1_sel:WORD_1
	v_mov_b32_e32 v3, 0
	s_waitcnt lgkmcnt(0)
	v_cmp_lt_u64_e64 s[0:1], s[10:11], 2
	v_mov_b32_e32 v1, 0
	v_mov_b32_e32 v6, v3
	s_and_b64 vcc, exec, s[0:1]
	v_mov_b32_e32 v2, 0
	s_cbranch_vccnz .LBB0_8
; %bb.1:
	s_load_dwordx2 s[0:1], s[4:5], 0x10
	s_add_u32 s6, s12, 8
	s_addc_u32 s7, s13, 0
	v_mov_b32_e32 v1, 0
	v_mov_b32_e32 v2, 0
	s_waitcnt lgkmcnt(0)
	s_add_u32 s14, s0, 8
	s_addc_u32 s15, s1, 0
	s_mov_b64 s[16:17], 1
.LBB0_2:                                ; =>This Inner Loop Header: Depth=1
	s_load_dwordx2 s[18:19], s[14:15], 0x0
                                        ; implicit-def: $vgpr7_vgpr8
	s_waitcnt lgkmcnt(0)
	v_or_b32_e32 v4, s19, v6
	v_cmp_ne_u64_e32 vcc, 0, v[3:4]
	s_and_saveexec_b64 s[0:1], vcc
	s_xor_b64 s[20:21], exec, s[0:1]
	s_cbranch_execz .LBB0_4
; %bb.3:                                ;   in Loop: Header=BB0_2 Depth=1
	v_cvt_f32_u32_e32 v4, s18
	v_cvt_f32_u32_e32 v7, s19
	s_sub_u32 s0, 0, s18
	s_subb_u32 s1, 0, s19
	v_mac_f32_e32 v4, 0x4f800000, v7
	v_rcp_f32_e32 v4, v4
	v_mul_f32_e32 v4, 0x5f7ffffc, v4
	v_mul_f32_e32 v7, 0x2f800000, v4
	v_trunc_f32_e32 v7, v7
	v_mac_f32_e32 v4, 0xcf800000, v7
	v_cvt_u32_f32_e32 v7, v7
	v_cvt_u32_f32_e32 v4, v4
	v_mul_lo_u32 v8, s0, v7
	v_mul_hi_u32 v9, s0, v4
	v_mul_lo_u32 v11, s1, v4
	v_mul_lo_u32 v10, s0, v4
	v_add_u32_e32 v8, v9, v8
	v_add_u32_e32 v8, v8, v11
	v_mul_hi_u32 v9, v4, v10
	v_mul_lo_u32 v11, v4, v8
	v_mul_hi_u32 v13, v4, v8
	v_mul_hi_u32 v12, v7, v10
	v_mul_lo_u32 v10, v7, v10
	v_mul_hi_u32 v14, v7, v8
	v_add_co_u32_e32 v9, vcc, v9, v11
	v_addc_co_u32_e32 v11, vcc, 0, v13, vcc
	v_mul_lo_u32 v8, v7, v8
	v_add_co_u32_e32 v9, vcc, v9, v10
	v_addc_co_u32_e32 v9, vcc, v11, v12, vcc
	v_addc_co_u32_e32 v10, vcc, 0, v14, vcc
	v_add_co_u32_e32 v8, vcc, v9, v8
	v_addc_co_u32_e32 v9, vcc, 0, v10, vcc
	v_add_co_u32_e32 v4, vcc, v4, v8
	v_addc_co_u32_e32 v7, vcc, v7, v9, vcc
	v_mul_lo_u32 v8, s0, v7
	v_mul_hi_u32 v9, s0, v4
	v_mul_lo_u32 v10, s1, v4
	v_mul_lo_u32 v11, s0, v4
	v_add_u32_e32 v8, v9, v8
	v_add_u32_e32 v8, v8, v10
	v_mul_lo_u32 v12, v4, v8
	v_mul_hi_u32 v13, v4, v11
	v_mul_hi_u32 v14, v4, v8
	;; [unrolled: 1-line block ×3, first 2 shown]
	v_mul_lo_u32 v11, v7, v11
	v_mul_hi_u32 v9, v7, v8
	v_add_co_u32_e32 v12, vcc, v13, v12
	v_addc_co_u32_e32 v13, vcc, 0, v14, vcc
	v_mul_lo_u32 v8, v7, v8
	v_add_co_u32_e32 v11, vcc, v12, v11
	v_addc_co_u32_e32 v10, vcc, v13, v10, vcc
	v_addc_co_u32_e32 v9, vcc, 0, v9, vcc
	v_add_co_u32_e32 v8, vcc, v10, v8
	v_addc_co_u32_e32 v9, vcc, 0, v9, vcc
	v_add_co_u32_e32 v4, vcc, v4, v8
	v_addc_co_u32_e32 v9, vcc, v7, v9, vcc
	v_mad_u64_u32 v[7:8], s[0:1], v5, v9, 0
	v_mul_hi_u32 v10, v5, v4
	v_add_co_u32_e32 v11, vcc, v10, v7
	v_addc_co_u32_e32 v12, vcc, 0, v8, vcc
	v_mad_u64_u32 v[7:8], s[0:1], v6, v4, 0
	v_mad_u64_u32 v[9:10], s[0:1], v6, v9, 0
	v_add_co_u32_e32 v4, vcc, v11, v7
	v_addc_co_u32_e32 v4, vcc, v12, v8, vcc
	v_addc_co_u32_e32 v7, vcc, 0, v10, vcc
	v_add_co_u32_e32 v4, vcc, v4, v9
	v_addc_co_u32_e32 v9, vcc, 0, v7, vcc
	v_mul_lo_u32 v10, s19, v4
	v_mul_lo_u32 v11, s18, v9
	v_mad_u64_u32 v[7:8], s[0:1], s18, v4, 0
	v_add3_u32 v8, v8, v11, v10
	v_sub_u32_e32 v10, v6, v8
	v_mov_b32_e32 v11, s19
	v_sub_co_u32_e32 v7, vcc, v5, v7
	v_subb_co_u32_e64 v10, s[0:1], v10, v11, vcc
	v_subrev_co_u32_e64 v11, s[0:1], s18, v7
	v_subbrev_co_u32_e64 v10, s[0:1], 0, v10, s[0:1]
	v_cmp_le_u32_e64 s[0:1], s19, v10
	v_cndmask_b32_e64 v12, 0, -1, s[0:1]
	v_cmp_le_u32_e64 s[0:1], s18, v11
	v_cndmask_b32_e64 v11, 0, -1, s[0:1]
	v_cmp_eq_u32_e64 s[0:1], s19, v10
	v_cndmask_b32_e64 v10, v12, v11, s[0:1]
	v_add_co_u32_e64 v11, s[0:1], 2, v4
	v_addc_co_u32_e64 v12, s[0:1], 0, v9, s[0:1]
	v_add_co_u32_e64 v13, s[0:1], 1, v4
	v_addc_co_u32_e64 v14, s[0:1], 0, v9, s[0:1]
	v_subb_co_u32_e32 v8, vcc, v6, v8, vcc
	v_cmp_ne_u32_e64 s[0:1], 0, v10
	v_cmp_le_u32_e32 vcc, s19, v8
	v_cndmask_b32_e64 v10, v14, v12, s[0:1]
	v_cndmask_b32_e64 v12, 0, -1, vcc
	v_cmp_le_u32_e32 vcc, s18, v7
	v_cndmask_b32_e64 v7, 0, -1, vcc
	v_cmp_eq_u32_e32 vcc, s19, v8
	v_cndmask_b32_e32 v7, v12, v7, vcc
	v_cmp_ne_u32_e32 vcc, 0, v7
	v_cndmask_b32_e64 v7, v13, v11, s[0:1]
	v_cndmask_b32_e32 v8, v9, v10, vcc
	v_cndmask_b32_e32 v7, v4, v7, vcc
.LBB0_4:                                ;   in Loop: Header=BB0_2 Depth=1
	s_andn2_saveexec_b64 s[0:1], s[20:21]
	s_cbranch_execz .LBB0_6
; %bb.5:                                ;   in Loop: Header=BB0_2 Depth=1
	v_cvt_f32_u32_e32 v4, s18
	s_sub_i32 s20, 0, s18
	v_rcp_iflag_f32_e32 v4, v4
	v_mul_f32_e32 v4, 0x4f7ffffe, v4
	v_cvt_u32_f32_e32 v4, v4
	v_mul_lo_u32 v7, s20, v4
	v_mul_hi_u32 v7, v4, v7
	v_add_u32_e32 v4, v4, v7
	v_mul_hi_u32 v4, v5, v4
	v_mul_lo_u32 v7, v4, s18
	v_add_u32_e32 v8, 1, v4
	v_sub_u32_e32 v7, v5, v7
	v_subrev_u32_e32 v9, s18, v7
	v_cmp_le_u32_e32 vcc, s18, v7
	v_cndmask_b32_e32 v7, v7, v9, vcc
	v_cndmask_b32_e32 v4, v4, v8, vcc
	v_add_u32_e32 v8, 1, v4
	v_cmp_le_u32_e32 vcc, s18, v7
	v_cndmask_b32_e32 v7, v4, v8, vcc
	v_mov_b32_e32 v8, v3
.LBB0_6:                                ;   in Loop: Header=BB0_2 Depth=1
	s_or_b64 exec, exec, s[0:1]
	v_mul_lo_u32 v4, v8, s18
	v_mul_lo_u32 v11, v7, s19
	v_mad_u64_u32 v[9:10], s[0:1], v7, s18, 0
	s_load_dwordx2 s[0:1], s[6:7], 0x0
	s_add_u32 s16, s16, 1
	v_add3_u32 v4, v10, v11, v4
	v_sub_co_u32_e32 v5, vcc, v5, v9
	v_subb_co_u32_e32 v4, vcc, v6, v4, vcc
	s_waitcnt lgkmcnt(0)
	v_mul_lo_u32 v4, s0, v4
	v_mul_lo_u32 v6, s1, v5
	v_mad_u64_u32 v[1:2], s[0:1], s0, v5, v[1:2]
	s_addc_u32 s17, s17, 0
	s_add_u32 s6, s6, 8
	v_add3_u32 v2, v6, v2, v4
	v_mov_b32_e32 v4, s10
	v_mov_b32_e32 v5, s11
	s_addc_u32 s7, s7, 0
	v_cmp_ge_u64_e32 vcc, s[16:17], v[4:5]
	s_add_u32 s14, s14, 8
	s_addc_u32 s15, s15, 0
	s_cbranch_vccnz .LBB0_9
; %bb.7:                                ;   in Loop: Header=BB0_2 Depth=1
	v_mov_b32_e32 v5, v7
	v_mov_b32_e32 v6, v8
	s_branch .LBB0_2
.LBB0_8:
	v_mov_b32_e32 v8, v6
	v_mov_b32_e32 v7, v5
.LBB0_9:
	s_lshl_b64 s[0:1], s[10:11], 3
	s_add_u32 s0, s12, s0
	s_addc_u32 s1, s13, s1
	s_load_dwordx2 s[6:7], s[0:1], 0x0
	s_load_dwordx2 s[10:11], s[4:5], 0x20
                                        ; implicit-def: $vgpr18_vgpr19
                                        ; implicit-def: $vgpr14_vgpr15
                                        ; implicit-def: $vgpr10_vgpr11
                                        ; implicit-def: $vgpr22_vgpr23
                                        ; implicit-def: $vgpr30_vgpr31
                                        ; implicit-def: $vgpr38_vgpr39
                                        ; implicit-def: $vgpr34_vgpr35
                                        ; implicit-def: $vgpr42_vgpr43
                                        ; implicit-def: $vgpr26_vgpr27
                                        ; implicit-def: $vgpr62_vgpr63
                                        ; implicit-def: $vgpr46_vgpr47
                                        ; implicit-def: $vgpr50_vgpr51
                                        ; implicit-def: $vgpr66_vgpr67
                                        ; implicit-def: $vgpr54_vgpr55
                                        ; implicit-def: $vgpr74_vgpr75
                                        ; implicit-def: $vgpr82_vgpr83
                                        ; implicit-def: $vgpr78_vgpr79
                                        ; implicit-def: $vgpr58_vgpr59
                                        ; implicit-def: $vgpr86_vgpr87
                                        ; implicit-def: $vgpr90_vgpr91
                                        ; implicit-def: $vgpr94_vgpr95
                                        ; implicit-def: $vgpr98_vgpr99
                                        ; implicit-def: $vgpr70_vgpr71
	s_waitcnt lgkmcnt(0)
	v_mad_u64_u32 v[1:2], s[0:1], s6, v7, v[1:2]
	v_mul_lo_u32 v3, s6, v8
	v_mul_lo_u32 v4, s7, v7
	s_mov_b32 s0, 0x20c49bb
	v_mul_hi_u32 v5, v0, s0
	v_cmp_gt_u64_e32 vcc, s[10:11], v[7:8]
	v_add3_u32 v2, v4, v2, v3
	v_lshlrev_b64 v[102:103], 4, v[1:2]
	v_mul_u32_u24_e32 v3, 0x7d, v5
	v_sub_u32_e32 v100, v0, v3
                                        ; implicit-def: $vgpr6_vgpr7
                                        ; implicit-def: $vgpr2_vgpr3
	s_and_saveexec_b64 s[4:5], vcc
	s_cbranch_execz .LBB0_11
; %bb.10:
	v_mov_b32_e32 v101, 0
	v_mov_b32_e32 v0, s3
	v_add_co_u32_e64 v2, s[0:1], s2, v102
	v_addc_co_u32_e64 v3, s[0:1], v0, v103, s[0:1]
	v_lshlrev_b64 v[0:1], 4, v[100:101]
	v_add_co_u32_e64 v0, s[0:1], v2, v0
	v_addc_co_u32_e64 v1, s[0:1], v3, v1, s[0:1]
	s_movk_i32 s0, 0x2000
	v_add_co_u32_e64 v2, s[0:1], s0, v0
	v_addc_co_u32_e64 v3, s[0:1], 0, v1, s[0:1]
	s_movk_i32 s0, 0x4000
	v_add_co_u32_e64 v4, s[0:1], s0, v0
	v_addc_co_u32_e64 v5, s[0:1], 0, v1, s[0:1]
	s_movk_i32 s0, 0x7000
	v_add_co_u32_e64 v6, s[0:1], s0, v0
	v_addc_co_u32_e64 v7, s[0:1], 0, v1, s[0:1]
	s_mov_b32 s0, 0x9000
	v_add_co_u32_e64 v104, s[0:1], s0, v0
	v_addc_co_u32_e64 v105, s[0:1], 0, v1, s[0:1]
	s_movk_i32 s0, 0x5000
	v_add_co_u32_e64 v16, s[0:1], s0, v0
	v_addc_co_u32_e64 v17, s[0:1], 0, v1, s[0:1]
	s_mov_b32 s0, 0xa000
	v_add_co_u32_e64 v8, s[0:1], s0, v0
	v_addc_co_u32_e64 v9, s[0:1], 0, v1, s[0:1]
	s_movk_i32 s0, 0x3000
	;; [unrolled: 6-line block ×3, first 2 shown]
	v_add_co_u32_e64 v22, s[0:1], s0, v0
	v_addc_co_u32_e64 v23, s[0:1], 0, v1, s[0:1]
	s_movk_i32 s0, 0x6000
	v_add_co_u32_e64 v106, s[0:1], s0, v0
	v_addc_co_u32_e64 v107, s[0:1], 0, v1, s[0:1]
	s_mov_b32 s0, 0xb000
	v_add_co_u32_e64 v108, s[0:1], s0, v0
	global_load_dwordx4 v[68:71], v[0:1], off
	global_load_dwordx4 v[56:59], v[0:1], off offset:2000
	global_load_dwordx4 v[52:55], v[8:9], off offset:1040
	;; [unrolled: 1-line block ×5, first 2 shown]
	v_addc_co_u32_e64 v109, s[0:1], 0, v1, s[0:1]
	global_load_dwordx4 v[60:63], v[20:21], off offset:1232
	global_load_dwordx4 v[32:35], v[18:19], off offset:3712
	;; [unrolled: 1-line block ×15, first 2 shown]
                                        ; kill: killed $vgpr18 killed $vgpr19
                                        ; kill: killed $vgpr16 killed $vgpr17
                                        ; kill: killed $vgpr6 killed $vgpr7
                                        ; kill: killed $vgpr0 killed $vgpr1
                                        ; kill: killed $vgpr4 killed $vgpr5
                                        ; kill: killed $vgpr22 killed $vgpr23
                                        ; kill: killed $vgpr2 killed $vgpr3
                                        ; kill: killed $vgpr20 killed $vgpr21
	global_load_dwordx4 v[0:3], v[104:105], off offset:1136
	s_nop 0
	global_load_dwordx4 v[16:19], v[106:107], off offset:3424
	global_load_dwordx4 v[20:23], v[108:109], off offset:944
	global_load_dwordx4 v[4:7], v[108:109], off offset:2944
.LBB0_11:
	s_or_b64 exec, exec, s[4:5]
	s_waitcnt vmcnt(7)
	v_add_f64 v[104:105], v[88:89], v[92:93]
	s_waitcnt vmcnt(5)
	v_add_f64 v[110:111], v[84:85], v[96:97]
	v_add_f64 v[114:115], v[90:91], v[94:95]
	v_add_f64 v[120:121], v[96:97], v[68:69]
	v_add_f64 v[122:123], v[98:99], v[70:71]
	v_add_f64 v[116:117], v[86:87], v[98:99]
	v_add_f64 v[106:107], v[98:99], -v[86:87]
	v_add_f64 v[118:119], v[96:97], -v[92:93]
	v_fma_f64 v[108:109], v[104:105], -0.5, v[68:69]
	v_fma_f64 v[112:113], v[110:111], -0.5, v[68:69]
	;; [unrolled: 1-line block ×3, first 2 shown]
	v_add_f64 v[114:115], v[92:93], v[120:121]
	v_add_f64 v[120:121], v[94:95], v[122:123]
	v_fma_f64 v[104:105], v[116:117], -0.5, v[70:71]
	v_add_f64 v[116:117], v[92:93], -v[96:97]
	v_add_f64 v[110:111], v[98:99], -v[94:95]
	;; [unrolled: 1-line block ×5, first 2 shown]
	v_add_f64 v[114:115], v[88:89], v[114:115]
	v_add_f64 v[122:123], v[90:91], v[120:121]
	v_add_f64 v[128:129], v[84:85], -v[88:89]
	v_add_f64 v[120:121], v[88:89], -v[84:85]
	;; [unrolled: 1-line block ×4, first 2 shown]
	s_waitcnt vmcnt(4)
	v_add_f64 v[90:91], v[72:73], v[80:81]
	v_add_f64 v[124:125], v[52:53], v[76:77]
	;; [unrolled: 1-line block ×7, first 2 shown]
	v_add_f64 v[96:97], v[96:97], -v[84:85]
	v_add_f64 v[84:85], v[86:87], v[122:123]
	v_fma_f64 v[122:123], v[90:91], -0.5, v[56:57]
	v_fma_f64 v[132:133], v[124:125], -0.5, v[56:57]
	v_add_f64 v[114:115], v[80:81], v[114:115]
	v_fma_f64 v[56:57], v[134:135], -0.5, v[58:59]
	v_add_f64 v[134:135], v[82:83], v[136:137]
	v_fma_f64 v[86:87], v[126:127], -0.5, v[58:59]
	v_add_f64 v[144:145], v[76:77], -v[80:81]
	v_add_f64 v[142:143], v[80:81], -v[76:77]
	;; [unrolled: 1-line block ×6, first 2 shown]
	v_add_f64 v[82:83], v[72:73], v[114:115]
	v_add_f64 v[114:115], v[74:75], v[134:135]
	;; [unrolled: 1-line block ×3, first 2 shown]
	v_add_f64 v[146:147], v[52:53], -v[72:73]
	v_add_f64 v[148:149], v[72:73], -v[52:53]
	;; [unrolled: 1-line block ×5, first 2 shown]
	v_add_f64 v[150:151], v[52:53], v[82:83]
	v_add_f64 v[82:83], v[48:49], v[64:65]
	;; [unrolled: 1-line block ×4, first 2 shown]
	v_fma_f64 v[154:155], v[134:135], -0.5, v[64:65]
	v_add_f64 v[72:73], v[74:75], -v[54:55]
	v_add_f64 v[74:75], v[60:61], v[44:45]
	v_add_f64 v[136:137], v[62:63], v[46:47]
	;; [unrolled: 1-line block ×4, first 2 shown]
	v_add_f64 v[158:159], v[48:49], -v[44:45]
	v_add_f64 v[114:115], v[46:47], v[114:115]
	v_add_f64 v[160:161], v[44:45], -v[48:49]
	v_add_f64 v[82:83], v[44:45], -v[60:61]
	v_fma_f64 v[152:153], v[74:75], -0.5, v[64:65]
	v_fma_f64 v[64:65], v[136:137], -0.5, v[66:67]
	;; [unrolled: 1-line block ×3, first 2 shown]
	v_add_f64 v[44:45], v[60:61], v[134:135]
	v_add_f64 v[66:67], v[48:49], -v[24:25]
	v_add_f64 v[48:49], v[62:63], v[114:115]
	v_add_f64 v[162:163], v[24:25], -v[60:61]
	v_add_f64 v[164:165], v[60:61], -v[24:25]
	v_add_f64 v[156:157], v[50:51], -v[26:27]
	v_add_f64 v[74:75], v[50:51], -v[46:47]
	v_add_f64 v[50:51], v[46:47], -v[50:51]
	v_add_f64 v[24:25], v[24:25], v[44:45]
	v_add_f64 v[44:45], v[34:35], v[42:43]
	v_add_f64 v[46:47], v[46:47], -v[62:63]
	v_add_f64 v[114:115], v[26:27], -v[62:63]
	v_add_f64 v[60:61], v[62:63], -v[26:27]
	v_add_f64 v[62:63], v[26:27], v[48:49]
	v_add_f64 v[26:27], v[32:33], v[40:41]
	;; [unrolled: 1-line block ×4, first 2 shown]
	s_waitcnt vmcnt(1)
	v_add_f64 v[140:141], v[22:23], v[34:35]
	v_add_f64 v[44:45], v[38:39], v[44:45]
	v_add_f64 v[170:171], v[34:35], -v[38:39]
	v_add_f64 v[136:137], v[20:21], v[32:33]
	v_add_f64 v[174:175], v[22:23], -v[30:31]
	v_add_f64 v[26:27], v[36:37], v[26:27]
	v_fma_f64 v[48:49], v[134:135], -0.5, v[40:41]
	v_fma_f64 v[138:139], v[138:139], -0.5, v[42:43]
	;; [unrolled: 1-line block ×3, first 2 shown]
	v_add_f64 v[42:43], v[34:35], -v[22:23]
	v_add_f64 v[140:141], v[38:39], -v[34:35]
	v_add_f64 v[34:35], v[30:31], v[44:45]
	v_add_f64 v[176:177], v[30:31], -v[22:23]
	v_add_f64 v[26:27], v[28:29], v[26:27]
	v_fma_f64 v[40:41], v[136:137], -0.5, v[40:41]
	v_add_f64 v[166:167], v[32:33], -v[36:37]
	v_add_f64 v[168:169], v[36:37], -v[32:33]
	v_add_f64 v[136:137], v[32:33], -v[20:21]
	v_add_f64 v[172:173], v[36:37], -v[28:29]
	v_add_f64 v[180:181], v[22:23], v[34:35]
	v_add_f64 v[22:23], v[12:13], v[8:9]
	v_add_f64 v[36:37], v[20:21], -v[28:29]
	v_add_f64 v[28:29], v[28:29], -v[20:21]
	v_add_f64 v[20:21], v[20:21], v[26:27]
	v_add_f64 v[26:27], v[14:15], v[10:11]
	;; [unrolled: 1-line block ×3, first 2 shown]
	s_waitcnt vmcnt(0)
	v_add_f64 v[178:179], v[6:7], v[14:15]
	v_add_f64 v[32:33], v[38:39], -v[30:31]
	v_add_f64 v[22:23], v[16:17], v[22:23]
	v_add_f64 v[30:31], v[0:1], v[16:17]
	;; [unrolled: 1-line block ×3, first 2 shown]
	s_mov_b32 s4, 0x134454ff
	v_add_f64 v[26:27], v[18:19], v[26:27]
	s_mov_b32 s5, 0xbfee6f0e
	v_fma_f64 v[182:183], v[44:45], -0.5, v[10:11]
	v_fma_f64 v[178:179], v[178:179], -0.5, v[10:11]
	v_add_f64 v[10:11], v[14:15], -v[6:7]
	v_add_f64 v[186:187], v[14:15], -v[18:19]
	;; [unrolled: 1-line block ×3, first 2 shown]
	v_add_f64 v[14:15], v[0:1], v[22:23]
	v_fma_f64 v[22:23], v[106:107], s[4:5], v[108:109]
	s_mov_b32 s13, 0x3fee6f0e
	s_mov_b32 s12, s4
	v_fma_f64 v[30:31], v[30:31], -0.5, v[8:9]
	v_fma_f64 v[8:9], v[38:39], -0.5, v[8:9]
	v_add_f64 v[34:35], v[12:13], -v[16:17]
	v_add_f64 v[38:39], v[16:17], -v[12:13]
	;; [unrolled: 1-line block ×3, first 2 shown]
	v_add_f64 v[16:17], v[2:3], v[26:27]
	v_add_f64 v[26:27], v[128:129], v[118:119]
	v_fma_f64 v[44:45], v[94:95], s[12:13], v[112:113]
	v_fma_f64 v[112:113], v[94:95], s[4:5], v[112:113]
	;; [unrolled: 1-line block ×3, first 2 shown]
	s_mov_b32 s6, 0x4755a5e
	s_mov_b32 s7, 0xbfe2cf23
	v_fma_f64 v[22:23], v[94:95], s[6:7], v[22:23]
	s_mov_b32 s11, 0x3fe2cf23
	s_mov_b32 s10, s6
	v_add_f64 v[116:117], v[120:121], v[116:117]
	v_fma_f64 v[44:45], v[106:107], s[6:7], v[44:45]
	v_fma_f64 v[112:113], v[106:107], s[10:11], v[112:113]
	v_add_f64 v[128:129], v[146:147], v[144:145]
	v_fma_f64 v[118:119], v[126:127], s[6:7], v[118:119]
	s_mov_b32 s14, 0x372fe950
	s_mov_b32 s15, 0x3fd3c6ef
	v_fma_f64 v[22:23], v[26:27], s[14:15], v[22:23]
	v_add_f64 v[120:121], v[6:7], -v[2:3]
	v_fma_f64 v[44:45], v[116:117], s[14:15], v[44:45]
	v_fma_f64 v[112:113], v[116:117], s[14:15], v[112:113]
	v_add_f64 v[116:117], v[2:3], -v[6:7]
	v_add_f64 v[192:193], v[6:7], v[16:17]
	v_fma_f64 v[6:7], v[128:129], s[14:15], v[118:119]
	v_mad_u32_u24 v194, v100, 40, 0
	v_add_f64 v[184:185], v[12:13], -v[4:5]
	v_add_f64 v[12:13], v[18:19], -v[2:3]
	;; [unrolled: 1-line block ×4, first 2 shown]
	v_add_f64 v[2:3], v[4:5], v[14:15]
	v_fma_f64 v[4:5], v[126:127], s[12:13], v[132:133]
	ds_write2_b64 v194, v[130:131], v[22:23] offset1:1
	ds_write2_b64 v194, v[44:45], v[112:113] offset0:2 offset1:3
	v_fma_f64 v[14:15], v[126:127], s[4:5], v[132:133]
	v_fma_f64 v[22:23], v[156:157], s[4:5], v[152:153]
	v_add_u32_e32 v132, 0x1388, v194
	ds_write2_b64 v132, v[150:151], v[6:7] offset1:1
	v_fma_f64 v[6:7], v[46:47], s[12:13], v[154:155]
	v_fma_f64 v[44:45], v[46:47], s[4:5], v[154:155]
	v_add_f64 v[16:17], v[148:149], v[142:143]
	v_fma_f64 v[4:5], v[124:125], s[6:7], v[4:5]
	v_fma_f64 v[14:15], v[124:125], s[10:11], v[14:15]
	v_add_f64 v[112:113], v[162:163], v[158:159]
	;; [unrolled: 3-line block ×3, first 2 shown]
	v_fma_f64 v[6:7], v[156:157], s[6:7], v[6:7]
	v_fma_f64 v[44:45], v[156:157], s[10:11], v[44:45]
	;; [unrolled: 1-line block ×6, first 2 shown]
	v_add_f64 v[22:23], v[36:37], v[166:167]
	v_fma_f64 v[36:37], v[32:33], s[6:7], v[118:119]
	v_fma_f64 v[6:7], v[130:131], s[14:15], v[6:7]
	;; [unrolled: 1-line block ×4, first 2 shown]
	v_add_u32_e32 v150, 0x1398, v194
	ds_write2_b64 v150, v[4:5], v[14:15] offset1:1
	v_fma_f64 v[14:15], v[94:95], s[10:11], v[106:107]
	v_add_u32_e32 v106, 0x2720, v194
	v_fma_f64 v[4:5], v[22:23], s[14:15], v[36:37]
	v_add_u32_e32 v118, 0x2710, v194
	ds_write2_b64 v106, v[6:7], v[44:45] offset1:1
	v_fma_f64 v[6:7], v[126:127], s[10:11], v[108:109]
	ds_write2_b64 v118, v[24:25], v[16:17] offset1:1
	v_fma_f64 v[24:25], v[42:43], s[12:13], v[48:49]
	v_fma_f64 v[16:17], v[156:157], s[12:13], v[152:153]
	v_add_u32_e32 v107, 0x3a98, v194
	ds_write2_b64 v107, v[20:21], v[4:5] offset1:1
	v_fma_f64 v[4:5], v[26:27], s[14:15], v[14:15]
	v_fma_f64 v[14:15], v[32:33], s[12:13], v[40:41]
	;; [unrolled: 1-line block ×10, first 2 shown]
	v_add_f64 v[18:19], v[18:19], v[34:35]
	v_fma_f64 v[34:35], v[96:97], s[12:13], v[68:69]
	ds_write_b64 v194, v[4:5] offset:32
	ds_write_b64 v194, v[6:7] offset:5032
	v_fma_f64 v[4:5], v[70:71], s[4:5], v[104:105]
	v_fma_f64 v[6:7], v[70:71], s[12:13], v[104:105]
	v_add_f64 v[28:29], v[28:29], v[168:169]
	v_fma_f64 v[14:15], v[42:43], s[6:7], v[14:15]
	v_fma_f64 v[20:21], v[42:43], s[10:11], v[20:21]
	;; [unrolled: 1-line block ×4, first 2 shown]
	v_add_f64 v[0:1], v[0:1], v[38:39]
	v_fma_f64 v[30:31], v[10:11], s[6:7], v[32:33]
	v_fma_f64 v[8:9], v[10:11], s[10:11], v[8:9]
	v_add_f64 v[92:93], v[92:93], v[110:111]
	v_fma_f64 v[10:11], v[112:113], s[14:15], v[16:17]
	v_fma_f64 v[16:17], v[22:23], s[14:15], v[24:25]
	;; [unrolled: 1-line block ×4, first 2 shown]
	v_add_f64 v[88:89], v[88:89], v[98:99]
	v_fma_f64 v[98:99], v[96:97], s[10:11], v[4:5]
	v_fma_f64 v[104:105], v[96:97], s[6:7], v[6:7]
	;; [unrolled: 1-line block ×14, first 2 shown]
	v_add_u32_e32 v108, 0x3aa8, v194
	v_add_u32_e32 v109, 0x4e20, v194
	;; [unrolled: 1-line block ×3, first 2 shown]
	ds_write_b64 v194, v[10:11] offset:10032
	ds_write2_b64 v108, v[14:15], v[20:21] offset1:1
	ds_write_b64 v194, v[16:17] offset:15032
	ds_write2_b64 v109, v[2:3], v[24:25] offset1:1
	ds_write2_b64 v110, v[18:19], v[0:1] offset1:1
	ds_write_b64 v194, v[12:13] offset:20032
	v_lshlrev_b32_e32 v0, 5, v100
	v_sub_u32_e32 v101, v194, v0
	v_add_u32_e32 v130, 0x2400, v101
	v_add_u32_e32 v143, 0x400, v101
	s_waitcnt lgkmcnt(0)
	s_barrier
	ds_read2_b64 v[8:11], v101 offset1:125
	v_add_u32_e32 v146, 0xc00, v101
	v_add_u32_e32 v147, 0x3400, v101
	v_add_u32_e32 v131, 0x4c00, v101
	v_add_u32_e32 v142, 0x1400, v101
	v_add_u32_e32 v133, 0x3c00, v101
	v_add_u32_e32 v145, 0x2c00, v101
	v_add_u32_e32 v144, 0x5400, v101
	v_add_u32_e32 v148, 0x1c00, v101
	v_add_u32_e32 v149, 0x4400, v101
	ds_read_b64 v[48:49], v101 offset:24000
	ds_read2_b64 v[0:3], v146 offset0:116 offset1:241
	ds_read2_b64 v[44:47], v130 offset0:98 offset1:223
	;; [unrolled: 1-line block ×11, first 2 shown]
	s_waitcnt lgkmcnt(0)
	s_barrier
	ds_write2_b64 v194, v[84:85], v[94:95] offset1:1
	ds_write2_b64 v194, v[96:97], v[88:89] offset0:2 offset1:3
	v_fma_f64 v[84:85], v[78:79], s[4:5], v[56:57]
	v_fma_f64 v[56:57], v[78:79], s[12:13], v[56:57]
	;; [unrolled: 1-line block ×6, first 2 shown]
	v_add_f64 v[72:73], v[72:73], v[76:77]
	v_fma_f64 v[76:77], v[82:83], s[4:5], v[54:55]
	v_fma_f64 v[54:55], v[82:83], s[12:13], v[54:55]
	v_fma_f64 v[84:85], v[58:59], s[10:11], v[84:85]
	v_fma_f64 v[56:57], v[58:59], s[6:7], v[56:57]
	v_add_f64 v[58:59], v[114:115], v[74:75]
	v_fma_f64 v[74:75], v[82:83], s[10:11], v[86:87]
	v_add_f64 v[80:81], v[80:81], v[90:91]
	v_fma_f64 v[64:65], v[82:83], s[6:7], v[64:65]
	;; [unrolled: 2-line block ×3, first 2 shown]
	v_fma_f64 v[54:55], v[66:67], s[6:7], v[54:55]
	v_fma_f64 v[76:77], v[72:73], s[14:15], v[84:85]
	;; [unrolled: 1-line block ×17, first 2 shown]
	v_add_f64 v[54:55], v[174:175], v[170:171]
	v_fma_f64 v[74:75], v[172:173], s[10:11], v[74:75]
	v_fma_f64 v[68:69], v[92:93], s[14:15], v[68:69]
	v_fma_f64 v[78:79], v[172:173], s[6:7], v[78:79]
	v_add_f64 v[86:87], v[176:177], v[140:141]
	v_fma_f64 v[64:65], v[136:137], s[10:11], v[64:65]
	v_fma_f64 v[80:81], v[136:137], s[6:7], v[80:81]
	v_add_f64 v[92:93], v[120:121], v[186:187]
	v_fma_f64 v[82:83], v[190:191], s[10:11], v[82:83]
	v_fma_f64 v[84:85], v[190:191], s[6:7], v[84:85]
	;; [unrolled: 3-line block ×3, first 2 shown]
	v_fma_f64 v[74:75], v[54:55], s[14:15], v[74:75]
	s_movk_i32 s0, 0xcd
	v_fma_f64 v[54:55], v[54:55], s[14:15], v[78:79]
	v_fma_f64 v[64:65], v[86:87], s[14:15], v[64:65]
	;; [unrolled: 1-line block ×7, first 2 shown]
	ds_write_b64 v194, v[68:69] offset:32
	ds_write2_b64 v132, v[52:53], v[66:67] offset1:1
	ds_write2_b64 v150, v[76:77], v[56:57] offset1:1
	ds_write_b64 v194, v[70:71] offset:5032
	ds_write2_b64 v118, v[62:63], v[72:73] offset1:1
	ds_write2_b64 v106, v[60:61], v[50:51] offset1:1
	;; [unrolled: 3-line block ×4, first 2 shown]
	ds_write_b64 v194, v[82:83] offset:20032
	v_mul_lo_u16_sdwa v50, v100, s0 dst_sel:DWORD dst_unused:UNUSED_PAD src0_sel:BYTE_0 src1_sel:DWORD
	v_lshrrev_b16_e32 v53, 10, v50
	v_mul_lo_u16_e32 v50, 5, v53
	v_sub_u16_e32 v52, v100, v50
	v_mov_b32_e32 v129, 6
	v_lshlrev_b32_sdwa v54, v129, v52 dst_sel:DWORD dst_unused:UNUSED_PAD src0_sel:DWORD src1_sel:BYTE_0
	s_waitcnt lgkmcnt(0)
	s_barrier
	global_load_dwordx4 v[58:61], v54, s[8:9] offset:16
	v_add_u32_e32 v134, 0x7d, v100
	v_mul_lo_u16_sdwa v50, v134, s0 dst_sel:DWORD dst_unused:UNUSED_PAD src0_sel:BYTE_0 src1_sel:DWORD
	v_lshrrev_b16_e32 v51, 10, v50
	v_mul_lo_u16_e32 v50, 5, v51
	v_sub_u16_e32 v50, v134, v50
	v_lshlrev_b32_sdwa v55, v129, v50 dst_sel:DWORD dst_unused:UNUSED_PAD src0_sel:DWORD src1_sel:BYTE_0
	global_load_dwordx4 v[62:65], v55, s[8:9] offset:16
	global_load_dwordx4 v[66:69], v54, s[8:9] offset:48
	global_load_dwordx4 v[70:73], v55, s[8:9]
	global_load_dwordx4 v[74:77], v55, s[8:9] offset:48
	v_add_u32_e32 v135, 0xfa, v100
	s_mov_b32 s0, 0xcccd
	v_mul_u32_u24_sdwa v56, v135, s0 dst_sel:DWORD dst_unused:UNUSED_PAD src0_sel:WORD_0 src1_sel:DWORD
	v_lshrrev_b32_e32 v57, 18, v56
	v_mul_lo_u16_e32 v56, 5, v57
	v_sub_u16_e32 v56, v135, v56
	v_lshlrev_b32_e32 v82, 6, v56
	global_load_dwordx4 v[78:81], v82, s[8:9]
	global_load_dwordx4 v[84:87], v55, s[8:9] offset:32
	global_load_dwordx4 v[116:119], v82, s[8:9] offset:16
	;; [unrolled: 1-line block ×3, first 2 shown]
	v_add_u32_e32 v136, 0x177, v100
	v_mul_u32_u24_sdwa v55, v136, s0 dst_sel:DWORD dst_unused:UNUSED_PAD src0_sel:WORD_0 src1_sel:DWORD
	v_lshrrev_b32_e32 v139, 18, v55
	v_mul_lo_u16_e32 v55, 5, v139
	v_sub_u16_e32 v138, v136, v55
	v_lshlrev_b32_e32 v55, 6, v138
	global_load_dwordx4 v[124:127], v55, s[8:9] offset:16
	global_load_dwordx4 v[150:153], v82, s[8:9] offset:48
	;; [unrolled: 1-line block ×3, first 2 shown]
                                        ; kill: killed $vgpr82
	global_load_dwordx4 v[158:161], v55, s[8:9]
	v_add_u32_e32 v132, 0x1f4, v100
	v_mul_u32_u24_sdwa v82, v132, s0 dst_sel:DWORD dst_unused:UNUSED_PAD src0_sel:WORD_0 src1_sel:DWORD
	v_lshrrev_b32_e32 v140, 18, v82
	v_mul_lo_u16_e32 v82, 5, v140
	v_sub_u16_e32 v137, v132, v82
	v_lshlrev_b32_e32 v98, 6, v137
	global_load_dwordx4 v[162:165], v98, s[8:9]
	global_load_dwordx4 v[166:169], v54, s[8:9] offset:32
	global_load_dwordx4 v[170:173], v98, s[8:9] offset:16
	global_load_dwordx4 v[174:177], v54, s[8:9]
	ds_read2_b64 v[88:91], v130 offset0:98 offset1:223
	global_load_dwordx4 v[178:181], v55, s[8:9] offset:32
	global_load_dwordx4 v[182:185], v98, s[8:9] offset:32
	;; [unrolled: 1-line block ×3, first 2 shown]
	ds_read2_b64 v[94:97], v131 offset0:68 offset1:193
	v_mov_b32_e32 v128, 3
	s_movk_i32 s0, 0x47af
	s_waitcnt vmcnt(19) lgkmcnt(1)
	v_mul_f64 v[54:55], v[88:89], v[60:61]
	v_mul_f64 v[60:61], v[44:45], v[60:61]
	s_waitcnt vmcnt(18)
	v_mul_f64 v[82:83], v[90:91], v[64:65]
	v_mul_f64 v[64:65], v[46:47], v[64:65]
	v_fma_f64 v[44:45], v[44:45], v[58:59], v[54:55]
	s_waitcnt vmcnt(17) lgkmcnt(0)
	v_mul_f64 v[54:55], v[94:95], v[68:69]
	v_fma_f64 v[112:113], v[88:89], v[58:59], -v[60:61]
	ds_read2_b64 v[58:61], v142 offset0:110 offset1:235
	v_fma_f64 v[92:93], v[46:47], v[62:63], v[82:83]
	v_mul_f64 v[46:47], v[40:41], v[68:69]
	s_waitcnt vmcnt(15)
	v_mul_f64 v[68:69], v[96:97], v[76:77]
	v_fma_f64 v[40:41], v[40:41], v[66:67], v[54:55]
	v_mul_f64 v[54:55], v[42:43], v[76:77]
	v_fma_f64 v[88:89], v[90:91], v[62:63], -v[64:65]
	ds_read2_b64 v[62:65], v133 offset0:80 offset1:205
	s_waitcnt lgkmcnt(1)
	v_mul_f64 v[76:77], v[58:59], v[72:73]
	v_mul_f64 v[72:73], v[36:37], v[72:73]
	s_waitcnt vmcnt(14)
	v_mul_f64 v[82:83], v[60:61], v[80:81]
	v_mul_f64 v[80:81], v[38:39], v[80:81]
	v_fma_f64 v[104:105], v[42:43], v[74:75], v[68:69]
	s_waitcnt vmcnt(13) lgkmcnt(0)
	v_mul_f64 v[42:43], v[62:63], v[86:87]
	v_fma_f64 v[114:115], v[94:95], v[66:67], -v[46:47]
	v_fma_f64 v[94:95], v[96:97], v[74:75], -v[54:55]
	v_mul_f64 v[46:47], v[28:29], v[86:87]
	s_waitcnt vmcnt(11)
	v_mul_f64 v[54:55], v[64:65], v[122:123]
	v_fma_f64 v[98:99], v[58:59], v[70:71], -v[72:73]
	v_fma_f64 v[82:83], v[38:39], v[78:79], v[82:83]
	v_fma_f64 v[78:79], v[60:61], v[78:79], -v[80:81]
	v_mul_f64 v[66:67], v[32:33], v[118:119]
	ds_read2_b64 v[58:61], v144 offset0:62 offset1:187
	v_fma_f64 v[108:109], v[36:37], v[70:71], v[76:77]
	ds_read2_b64 v[36:39], v145 offset0:92 offset1:217
	v_fma_f64 v[110:111], v[28:29], v[84:85], v[42:43]
	v_mul_f64 v[28:29], v[30:31], v[122:123]
	v_fma_f64 v[106:107], v[62:63], v[84:85], -v[46:47]
	v_fma_f64 v[86:87], v[30:31], v[120:121], v[54:55]
	s_waitcnt vmcnt(10)
	v_mul_f64 v[46:47], v[34:35], v[126:127]
	s_waitcnt vmcnt(9) lgkmcnt(1)
	v_mul_f64 v[54:55], v[58:59], v[152:153]
	s_waitcnt lgkmcnt(0)
	v_mul_f64 v[42:43], v[36:37], v[118:119]
	v_mul_f64 v[68:69], v[38:39], v[126:127]
	v_fma_f64 v[84:85], v[36:37], v[116:117], -v[66:67]
	v_mul_f64 v[36:37], v[24:25], v[152:153]
	v_fma_f64 v[80:81], v[64:65], v[120:121], -v[28:29]
	ds_read2_b64 v[28:31], v148 offset0:104 offset1:229
	v_fma_f64 v[66:67], v[38:39], v[124:125], -v[46:47]
	s_waitcnt vmcnt(8)
	v_mul_f64 v[38:39], v[60:61], v[156:157]
	v_fma_f64 v[96:97], v[24:25], v[150:151], v[54:55]
	v_mul_f64 v[24:25], v[26:27], v[156:157]
	v_fma_f64 v[90:91], v[32:33], v[116:117], v[42:43]
	v_fma_f64 v[64:65], v[34:35], v[124:125], v[68:69]
	s_waitcnt vmcnt(7) lgkmcnt(0)
	v_mul_f64 v[42:43], v[28:29], v[160:161]
	ds_read2_b64 v[32:35], v147 offset0:86 offset1:211
	v_fma_f64 v[76:77], v[58:59], v[150:151], -v[36:37]
	s_waitcnt vmcnt(6)
	v_mul_f64 v[36:37], v[30:31], v[164:165]
	v_fma_f64 v[72:73], v[26:27], v[154:155], v[38:39]
	v_mul_f64 v[26:27], v[18:19], v[164:165]
	s_waitcnt vmcnt(5) lgkmcnt(0)
	v_mul_f64 v[38:39], v[34:35], v[168:169]
	v_fma_f64 v[62:63], v[60:61], v[154:155], -v[24:25]
	v_mul_f64 v[24:25], v[22:23], v[168:169]
	v_mul_f64 v[46:47], v[16:17], v[160:161]
	v_fma_f64 v[74:75], v[16:17], v[158:159], v[42:43]
	v_fma_f64 v[60:61], v[18:19], v[162:163], v[36:37]
	ds_read2_b64 v[16:19], v146 offset0:116 offset1:241
	v_fma_f64 v[58:59], v[30:31], v[162:163], -v[26:27]
	v_fma_f64 v[22:23], v[22:23], v[166:167], v[38:39]
	s_waitcnt vmcnt(4)
	v_mul_f64 v[30:31], v[32:33], v[172:173]
	v_fma_f64 v[24:25], v[34:35], v[166:167], -v[24:25]
	s_waitcnt vmcnt(3) lgkmcnt(0)
	v_mul_f64 v[36:37], v[18:19], v[176:177]
	v_mul_f64 v[34:35], v[2:3], v[176:177]
	v_fma_f64 v[70:71], v[28:29], v[158:159], -v[46:47]
	ds_read2_b64 v[26:29], v149 offset0:74 offset1:199
	v_mul_f64 v[38:39], v[20:21], v[172:173]
	s_waitcnt vmcnt(2)
	v_mul_f64 v[46:47], v[12:13], v[180:181]
	v_fma_f64 v[68:69], v[20:21], v[170:171], v[30:31]
	v_add_f64 v[20:21], v[44:45], v[22:23]
	v_fma_f64 v[2:3], v[2:3], v[174:175], v[36:37]
	v_fma_f64 v[30:31], v[18:19], v[174:175], -v[34:35]
	s_waitcnt lgkmcnt(0)
	v_mul_f64 v[42:43], v[26:27], v[180:181]
	s_waitcnt vmcnt(1)
	v_mul_f64 v[54:55], v[28:29], v[184:185]
	v_fma_f64 v[18:19], v[32:33], v[170:171], -v[38:39]
	v_fma_f64 v[122:123], v[26:27], v[178:179], -v[46:47]
	s_waitcnt vmcnt(0)
	v_mul_f64 v[36:37], v[48:49], v[188:189]
	v_fma_f64 v[20:21], v[20:21], -0.5, v[8:9]
	v_add_f64 v[26:27], v[8:9], v[2:3]
	v_add_f64 v[32:33], v[30:31], -v[114:115]
	v_add_f64 v[46:47], v[2:3], v[40:41]
	v_fma_f64 v[124:125], v[12:13], v[178:179], v[42:43]
	ds_read_b64 v[12:13], v101 offset:24000
	v_fma_f64 v[116:117], v[14:15], v[182:183], v[54:55]
	v_mul_f64 v[14:15], v[14:15], v[184:185]
	v_add_f64 v[38:39], v[2:3], -v[44:45]
	v_add_f64 v[42:43], v[40:41], -v[22:23]
	s_waitcnt lgkmcnt(0)
	v_mul_f64 v[34:35], v[12:13], v[188:189]
	v_add_f64 v[26:27], v[26:27], v[44:45]
	v_fma_f64 v[54:55], v[32:33], s[4:5], v[20:21]
	v_add_f64 v[150:151], v[112:113], -v[24:25]
	v_fma_f64 v[8:9], v[46:47], -0.5, v[8:9]
	v_fma_f64 v[120:121], v[28:29], v[182:183], -v[14:15]
	v_mul_u32_u24_e32 v28, 0xc8, v53
	v_lshlrev_b32_sdwa v29, v128, v52 dst_sel:DWORD dst_unused:UNUSED_PAD src0_sel:DWORD src1_sel:BYTE_0
	v_fma_f64 v[126:127], v[48:49], v[186:187], v[34:35]
	v_fma_f64 v[118:119], v[12:13], v[186:187], -v[36:37]
	v_add_f64 v[12:13], v[38:39], v[42:43]
	v_add_f64 v[14:15], v[26:27], v[22:23]
	v_fma_f64 v[26:27], v[150:151], s[6:7], v[54:55]
	v_add3_u32 v141, 0, v28, v29
	v_add_f64 v[28:29], v[44:45], -v[2:3]
	v_add_f64 v[34:35], v[22:23], -v[40:41]
	v_fma_f64 v[36:37], v[150:151], s[12:13], v[8:9]
	v_fma_f64 v[8:9], v[150:151], s[4:5], v[8:9]
	;; [unrolled: 1-line block ×3, first 2 shown]
	v_add_f64 v[14:15], v[14:15], v[40:41]
	v_fma_f64 v[26:27], v[12:13], s[14:15], v[26:27]
	ds_read2_b64 v[152:155], v101 offset1:125
	ds_read2_b64 v[52:55], v143 offset0:122 offset1:247
	s_waitcnt lgkmcnt(0)
	v_add_f64 v[28:29], v[28:29], v[34:35]
	v_fma_f64 v[34:35], v[32:33], s[6:7], v[36:37]
	v_add_f64 v[36:37], v[92:93], v[110:111]
	v_fma_f64 v[8:9], v[32:33], s[10:11], v[8:9]
	v_add_f64 v[32:33], v[108:109], v[104:105]
	s_barrier
	ds_write2_b64 v141, v[14:15], v[26:27] offset1:5
	v_fma_f64 v[20:21], v[150:151], s[10:11], v[20:21]
	v_fma_f64 v[14:15], v[28:29], s[14:15], v[34:35]
	v_fma_f64 v[26:27], v[36:37], -0.5, v[10:11]
	v_add_f64 v[34:35], v[10:11], v[108:109]
	v_add_f64 v[36:37], v[98:99], -v[94:95]
	v_fma_f64 v[8:9], v[28:29], s[14:15], v[8:9]
	v_fma_f64 v[10:11], v[32:33], -0.5, v[10:11]
	v_add_f64 v[28:29], v[88:89], -v[106:107]
	v_add_f64 v[32:33], v[108:109], -v[92:93]
	v_add_f64 v[38:39], v[104:105], -v[110:111]
	v_fma_f64 v[12:13], v[12:13], s[14:15], v[20:21]
	v_add_f64 v[34:35], v[34:35], v[92:93]
	v_fma_f64 v[42:43], v[36:37], s[4:5], v[26:27]
	v_add_f64 v[20:21], v[92:93], -v[108:109]
	v_add_f64 v[46:47], v[110:111], -v[104:105]
	v_fma_f64 v[48:49], v[28:29], s[12:13], v[10:11]
	v_fma_f64 v[10:11], v[28:29], s[4:5], v[10:11]
	v_add_f64 v[32:33], v[32:33], v[38:39]
	ds_write2_b64 v141, v[14:15], v[8:9] offset0:10 offset1:15
	ds_write_b64 v141, v[12:13] offset:160
	v_add_f64 v[34:35], v[34:35], v[110:111]
	v_fma_f64 v[38:39], v[28:29], s[6:7], v[42:43]
	v_fma_f64 v[26:27], v[36:37], s[12:13], v[26:27]
	v_add_f64 v[8:9], v[20:21], v[46:47]
	v_fma_f64 v[12:13], v[36:37], s[6:7], v[48:49]
	v_fma_f64 v[10:11], v[36:37], s[10:11], v[10:11]
	v_mul_u32_u24_e32 v42, 0xc8, v51
	v_lshlrev_b32_sdwa v36, v128, v50 dst_sel:DWORD dst_unused:UNUSED_PAD src0_sel:DWORD src1_sel:BYTE_0
	v_add_f64 v[14:15], v[34:35], v[104:105]
	v_fma_f64 v[20:21], v[32:33], s[14:15], v[38:39]
	v_add_f64 v[34:35], v[90:91], v[86:87]
	v_add3_u32 v150, 0, v42, v36
	v_fma_f64 v[12:13], v[8:9], s[14:15], v[12:13]
	v_fma_f64 v[8:9], v[8:9], s[14:15], v[10:11]
	v_add_f64 v[10:11], v[82:83], v[96:97]
	v_add_f64 v[36:37], v[86:87], -v[96:97]
	v_mul_u32_u24_e32 v42, 0xc8, v57
	ds_write2_b64 v150, v[14:15], v[20:21] offset1:5
	v_fma_f64 v[14:15], v[28:29], s[10:11], v[26:27]
	v_add_f64 v[20:21], v[4:5], v[82:83]
	v_fma_f64 v[26:27], v[34:35], -0.5, v[4:5]
	v_add_f64 v[28:29], v[78:79], -v[76:77]
	ds_write2_b64 v150, v[12:13], v[8:9] offset0:10 offset1:15
	v_add_f64 v[8:9], v[84:85], -v[80:81]
	v_fma_f64 v[4:5], v[10:11], -0.5, v[4:5]
	v_add_f64 v[10:11], v[82:83], -v[90:91]
	v_add_f64 v[12:13], v[96:97], -v[86:87]
	v_fma_f64 v[14:15], v[32:33], s[14:15], v[14:15]
	v_add_f64 v[20:21], v[20:21], v[90:91]
	v_fma_f64 v[32:33], v[28:29], s[4:5], v[26:27]
	v_add_f64 v[34:35], v[90:91], -v[82:83]
	v_fma_f64 v[26:27], v[28:29], s[12:13], v[26:27]
	v_fma_f64 v[38:39], v[8:9], s[12:13], v[4:5]
	;; [unrolled: 1-line block ×3, first 2 shown]
	v_add_f64 v[10:11], v[10:11], v[12:13]
	ds_write_b64 v150, v[14:15] offset:160
	v_add_f64 v[12:13], v[20:21], v[86:87]
	v_fma_f64 v[14:15], v[8:9], s[6:7], v[32:33]
	v_add_f64 v[20:21], v[34:35], v[36:37]
	v_lshlrev_b32_e32 v34, 3, v56
	v_fma_f64 v[32:33], v[28:29], s[6:7], v[38:39]
	v_fma_f64 v[4:5], v[28:29], s[10:11], v[4:5]
	v_add_f64 v[28:29], v[64:65], v[124:125]
	v_add3_u32 v151, 0, v42, v34
	v_add_f64 v[12:13], v[12:13], v[96:97]
	v_fma_f64 v[14:15], v[10:11], s[14:15], v[14:15]
	v_fma_f64 v[8:9], v[8:9], s[10:11], v[26:27]
	v_add_f64 v[36:37], v[6:7], v[74:75]
	v_fma_f64 v[32:33], v[20:21], s[14:15], v[32:33]
	v_fma_f64 v[4:5], v[20:21], s[14:15], v[4:5]
	v_add_f64 v[20:21], v[74:75], v[72:73]
	v_fma_f64 v[26:27], v[28:29], -0.5, v[6:7]
	v_add_f64 v[38:39], v[70:71], -v[62:63]
	v_add_f64 v[28:29], v[74:75], -v[64:65]
	;; [unrolled: 1-line block ×3, first 2 shown]
	ds_write2_b64 v151, v[12:13], v[14:15] offset1:5
	v_add_f64 v[12:13], v[66:67], -v[122:123]
	ds_write2_b64 v151, v[32:33], v[4:5] offset0:10 offset1:15
	v_fma_f64 v[6:7], v[20:21], -0.5, v[6:7]
	v_fma_f64 v[4:5], v[10:11], s[14:15], v[8:9]
	v_add_f64 v[10:11], v[36:37], v[64:65]
	v_fma_f64 v[14:15], v[38:39], s[4:5], v[26:27]
	v_add_f64 v[8:9], v[28:29], v[34:35]
	v_add_f64 v[20:21], v[64:65], -v[74:75]
	v_add_f64 v[28:29], v[124:125], -v[72:73]
	v_mul_u32_u24_e32 v34, 0xc8, v139
	v_fma_f64 v[32:33], v[12:13], s[12:13], v[6:7]
	v_fma_f64 v[6:7], v[12:13], s[4:5], v[6:7]
	ds_write_b64 v151, v[4:5] offset:160
	v_add_f64 v[4:5], v[10:11], v[124:125]
	v_fma_f64 v[10:11], v[12:13], s[6:7], v[14:15]
	v_fma_f64 v[14:15], v[38:39], s[12:13], v[26:27]
	v_add_f64 v[20:21], v[20:21], v[28:29]
	v_lshlrev_b32_e32 v28, 3, v138
	v_fma_f64 v[26:27], v[38:39], s[6:7], v[32:33]
	v_fma_f64 v[6:7], v[38:39], s[10:11], v[6:7]
	v_add3_u32 v168, 0, v34, v28
	v_add_f64 v[4:5], v[4:5], v[72:73]
	v_fma_f64 v[10:11], v[8:9], s[14:15], v[10:11]
	v_fma_f64 v[12:13], v[12:13], s[10:11], v[14:15]
	v_add_f64 v[14:15], v[68:69], v[116:117]
	v_add_f64 v[28:29], v[0:1], v[60:61]
	v_fma_f64 v[26:27], v[20:21], s[14:15], v[26:27]
	v_fma_f64 v[6:7], v[20:21], s[14:15], v[6:7]
	v_add_f64 v[20:21], v[60:61], v[126:127]
	v_add_f64 v[32:33], v[60:61], -v[68:69]
	v_add_f64 v[34:35], v[126:127], -v[116:117]
	v_fma_f64 v[8:9], v[8:9], s[14:15], v[12:13]
	v_fma_f64 v[12:13], v[14:15], -0.5, v[0:1]
	v_add_f64 v[14:15], v[58:59], -v[118:119]
	ds_write2_b64 v168, v[4:5], v[10:11] offset1:5
	ds_write2_b64 v168, v[26:27], v[6:7] offset0:10 offset1:15
	v_add_f64 v[10:11], v[18:19], -v[120:121]
	v_fma_f64 v[0:1], v[20:21], -0.5, v[0:1]
	v_add_f64 v[20:21], v[68:69], -v[60:61]
	v_add_f64 v[26:27], v[116:117], -v[126:127]
	v_add_f64 v[4:5], v[28:29], v[68:69]
	ds_write_b64 v168, v[8:9] offset:160
	v_fma_f64 v[8:9], v[14:15], s[4:5], v[12:13]
	v_add_f64 v[6:7], v[32:33], v[34:35]
	v_fma_f64 v[12:13], v[14:15], s[12:13], v[12:13]
	v_fma_f64 v[32:33], v[10:11], s[12:13], v[0:1]
	;; [unrolled: 1-line block ×3, first 2 shown]
	v_add_f64 v[20:21], v[20:21], v[26:27]
	v_add_f64 v[26:27], v[152:153], v[30:31]
	;; [unrolled: 1-line block ×3, first 2 shown]
	v_fma_f64 v[8:9], v[10:11], s[6:7], v[8:9]
	v_add_f64 v[138:139], v[2:3], -v[40:41]
	v_fma_f64 v[10:11], v[10:11], s[10:11], v[12:13]
	v_fma_f64 v[2:3], v[14:15], s[6:7], v[32:33]
	v_fma_f64 v[0:1], v[14:15], s[10:11], v[0:1]
	v_mul_u32_u24_e32 v34, 0xc8, v140
	v_add_f64 v[14:15], v[26:27], v[112:113]
	v_add_f64 v[4:5], v[4:5], v[126:127]
	v_fma_f64 v[8:9], v[6:7], s[14:15], v[8:9]
	v_add_f64 v[28:29], v[112:113], v[24:25]
	v_fma_f64 v[6:7], v[6:7], s[14:15], v[10:11]
	v_fma_f64 v[2:3], v[20:21], s[14:15], v[2:3]
	;; [unrolled: 1-line block ×3, first 2 shown]
	v_add_f64 v[158:159], v[44:45], -v[22:23]
	v_add_f64 v[10:11], v[14:15], v[24:25]
	v_lshlrev_b32_e32 v14, 3, v137
	v_add3_u32 v169, 0, v34, v14
	ds_write2_b64 v169, v[4:5], v[8:9] offset1:5
	ds_write2_b64 v169, v[2:3], v[0:1] offset0:10 offset1:15
	ds_write_b64 v169, v[6:7] offset:160
	v_add_f64 v[4:5], v[30:31], v[114:115]
	v_fma_f64 v[156:157], v[28:29], -0.5, v[152:153]
	v_add_f64 v[12:13], v[30:31], -v[112:113]
	v_add_f64 v[22:23], v[114:115], -v[24:25]
	v_add_f64 v[162:163], v[10:11], v[114:115]
	v_add_f64 v[112:113], v[112:113], -v[30:31]
	v_add_f64 v[114:115], v[24:25], -v[114:115]
	;; [unrolled: 1-line block ×3, first 2 shown]
	v_fma_f64 v[4:5], v[4:5], -0.5, v[152:153]
	v_fma_f64 v[26:27], v[138:139], s[12:13], v[156:157]
	s_waitcnt lgkmcnt(0)
	v_add_f64 v[160:161], v[12:13], v[22:23]
	s_barrier
	v_add_f64 v[112:113], v[112:113], v[114:115]
	ds_read_b64 v[56:57], v101 offset:24000
	ds_read2_b64 v[8:11], v101 offset1:125
	ds_read2_b64 v[0:3], v146 offset0:116 offset1:241
	v_fma_f64 v[152:153], v[158:159], s[4:5], v[4:5]
	v_fma_f64 v[166:167], v[158:159], s[12:13], v[4:5]
	;; [unrolled: 1-line block ×3, first 2 shown]
	ds_read2_b64 v[48:51], v130 offset0:98 offset1:223
	ds_read2_b64 v[20:23], v147 offset0:86 offset1:211
	;; [unrolled: 1-line block ×5, first 2 shown]
	v_add_f64 v[92:93], v[92:93], -v[110:111]
	v_add_f64 v[82:83], v[82:83], -v[96:97]
	v_add_f64 v[96:97], v[52:53], v[78:79]
	v_add_f64 v[86:87], v[90:91], -v[86:87]
	v_fma_f64 v[114:115], v[138:139], s[10:11], v[152:153]
	v_fma_f64 v[152:153], v[138:139], s[6:7], v[166:167]
	;; [unrolled: 1-line block ×3, first 2 shown]
	v_add_f64 v[139:140], v[154:155], v[98:99]
	v_add_f64 v[156:157], v[88:89], v[106:107]
	v_fma_f64 v[164:165], v[160:161], s[14:15], v[12:13]
	ds_read2_b64 v[4:7], v143 offset0:122 offset1:247
	ds_read2_b64 v[32:35], v145 offset0:92 offset1:217
	;; [unrolled: 1-line block ×5, first 2 shown]
	s_waitcnt lgkmcnt(0)
	v_fma_f64 v[114:115], v[112:113], s[14:15], v[114:115]
	v_fma_f64 v[112:113], v[112:113], s[14:15], v[152:153]
	;; [unrolled: 1-line block ×3, first 2 shown]
	v_add_f64 v[139:140], v[139:140], v[88:89]
	v_fma_f64 v[152:153], v[156:157], -0.5, v[154:155]
	v_add_f64 v[156:157], v[98:99], v[94:95]
	s_barrier
	v_add_f64 v[158:159], v[98:99], -v[88:89]
	v_add_f64 v[166:167], v[94:95], -v[106:107]
	ds_write2_b64 v141, v[162:163], v[164:165] offset1:5
	ds_write2_b64 v141, v[114:115], v[112:113] offset0:10 offset1:15
	v_add_f64 v[108:109], v[139:140], v[106:107]
	v_fma_f64 v[112:113], v[160:161], s[14:15], v[137:138]
	v_fma_f64 v[114:115], v[156:157], -0.5, v[154:155]
	v_fma_f64 v[137:138], v[104:105], s[12:13], v[152:153]
	v_add_f64 v[88:89], v[88:89], -v[98:99]
	v_fma_f64 v[98:99], v[104:105], s[4:5], v[152:153]
	v_add_f64 v[152:153], v[78:79], v[76:77]
	v_add_f64 v[90:91], v[78:79], -v[84:85]
	v_add_f64 v[108:109], v[108:109], v[94:95]
	v_add_f64 v[94:95], v[106:107], -v[94:95]
	v_add_f64 v[106:107], v[84:85], v[80:81]
	v_fma_f64 v[139:140], v[92:93], s[4:5], v[114:115]
	v_fma_f64 v[114:115], v[92:93], s[12:13], v[114:115]
	;; [unrolled: 1-line block ×4, first 2 shown]
	v_add_f64 v[96:97], v[96:97], v[84:85]
	v_add_f64 v[78:79], v[84:85], -v[78:79]
	v_add_f64 v[88:89], v[88:89], v[94:95]
	v_fma_f64 v[98:99], v[106:107], -0.5, v[52:53]
	v_fma_f64 v[94:95], v[104:105], s[10:11], v[139:140]
	v_fma_f64 v[52:53], v[152:153], -0.5, v[52:53]
	v_add_f64 v[106:107], v[76:77], -v[80:81]
	v_add_f64 v[84:85], v[80:81], -v[76:77]
	v_fma_f64 v[104:105], v[104:105], s[6:7], v[114:115]
	v_add_f64 v[80:81], v[96:97], v[80:81]
	v_add_f64 v[96:97], v[54:55], v[70:71]
	v_fma_f64 v[139:140], v[82:83], s[12:13], v[98:99]
	v_fma_f64 v[98:99], v[82:83], s[4:5], v[98:99]
	;; [unrolled: 1-line block ×4, first 2 shown]
	v_add_f64 v[90:91], v[90:91], v[106:107]
	v_add_f64 v[78:79], v[78:79], v[84:85]
	v_fma_f64 v[94:95], v[88:89], s[14:15], v[94:95]
	v_fma_f64 v[88:89], v[88:89], s[14:15], v[104:105]
	;; [unrolled: 1-line block ×4, first 2 shown]
	v_add_f64 v[98:99], v[66:67], v[122:123]
	v_fma_f64 v[84:85], v[82:83], s[10:11], v[152:153]
	v_fma_f64 v[52:53], v[82:83], s[6:7], v[52:53]
	v_add_f64 v[76:77], v[80:81], v[76:77]
	v_add_f64 v[104:105], v[70:71], -v[66:67]
	v_add_f64 v[72:73], v[74:75], -v[72:73]
	v_fma_f64 v[80:81], v[90:91], s[14:15], v[106:107]
	v_fma_f64 v[86:87], v[90:91], s[14:15], v[86:87]
	v_add_f64 v[90:91], v[96:97], v[66:67]
	v_add_f64 v[96:97], v[70:71], v[62:63]
	v_add_f64 v[106:107], v[62:63], -v[122:123]
	v_fma_f64 v[98:99], v[98:99], -0.5, v[54:55]
	v_fma_f64 v[74:75], v[78:79], s[14:15], v[84:85]
	v_fma_f64 v[52:53], v[78:79], s[14:15], v[52:53]
	v_add_f64 v[64:65], v[64:65], -v[124:125]
	v_add_f64 v[66:67], v[66:67], -v[70:71]
	v_add_f64 v[78:79], v[90:91], v[122:123]
	v_fma_f64 v[54:55], v[96:97], -0.5, v[54:55]
	v_add_f64 v[84:85], v[104:105], v[106:107]
	v_fma_f64 v[70:71], v[72:73], s[12:13], v[98:99]
	v_fma_f64 v[90:91], v[72:73], s[4:5], v[98:99]
	v_add_f64 v[96:97], v[18:19], v[120:121]
	v_add_f64 v[104:105], v[58:59], v[118:119]
	;; [unrolled: 1-line block ×4, first 2 shown]
	v_add_f64 v[62:63], v[122:123], -v[62:63]
	v_fma_f64 v[98:99], v[64:65], s[4:5], v[54:55]
	v_fma_f64 v[54:55], v[64:65], s[12:13], v[54:55]
	;; [unrolled: 1-line block ×4, first 2 shown]
	v_fma_f64 v[90:91], v[96:97], -0.5, v[16:17]
	v_add_f64 v[96:97], v[16:17], v[58:59]
	v_add_f64 v[60:61], v[60:61], -v[126:127]
	v_fma_f64 v[16:17], v[104:105], -0.5, v[16:17]
	v_add_f64 v[68:69], v[68:69], -v[116:117]
	v_fma_f64 v[82:83], v[110:111], s[14:15], v[137:138]
	v_fma_f64 v[92:93], v[110:111], s[14:15], v[92:93]
	v_add_f64 v[62:63], v[66:67], v[62:63]
	v_fma_f64 v[66:67], v[72:73], s[10:11], v[98:99]
	v_add_f64 v[98:99], v[58:59], -v[18:19]
	v_add_f64 v[104:105], v[118:119], -v[120:121]
	v_add_f64 v[96:97], v[96:97], v[18:19]
	v_fma_f64 v[106:107], v[60:61], s[12:13], v[90:91]
	v_fma_f64 v[90:91], v[60:61], s[4:5], v[90:91]
	v_add_f64 v[18:19], v[18:19], -v[58:59]
	v_add_f64 v[58:59], v[120:121], -v[118:119]
	v_fma_f64 v[110:111], v[68:69], s[4:5], v[16:17]
	v_fma_f64 v[16:17], v[68:69], s[12:13], v[16:17]
	;; [unrolled: 1-line block ×3, first 2 shown]
	v_add_f64 v[72:73], v[98:99], v[104:105]
	v_fma_f64 v[98:99], v[68:69], s[10:11], v[106:107]
	v_fma_f64 v[68:69], v[68:69], s[6:7], v[90:91]
	v_add_f64 v[90:91], v[96:97], v[120:121]
	v_add_f64 v[18:19], v[18:19], v[58:59]
	v_fma_f64 v[58:59], v[60:61], s[10:11], v[110:111]
	v_fma_f64 v[16:17], v[60:61], s[6:7], v[16:17]
	;; [unrolled: 1-line block ×6, first 2 shown]
	v_add_f64 v[62:63], v[90:91], v[118:119]
	v_fma_f64 v[70:71], v[72:73], s[14:15], v[98:99]
	v_fma_f64 v[68:69], v[72:73], s[14:15], v[68:69]
	;; [unrolled: 1-line block ×4, first 2 shown]
	ds_write_b64 v141, v[112:113] offset:160
	ds_write2_b64 v150, v[108:109], v[82:83] offset1:5
	ds_write2_b64 v150, v[94:95], v[88:89] offset0:10 offset1:15
	ds_write_b64 v150, v[92:93] offset:160
	ds_write2_b64 v151, v[76:77], v[80:81] offset1:5
	ds_write2_b64 v151, v[74:75], v[52:53] offset0:10 offset1:15
	;; [unrolled: 3-line block ×4, first 2 shown]
	ds_write_b64 v169, v[68:69] offset:160
	v_mov_b32_e32 v52, 41
	v_mul_lo_u16_sdwa v16, v100, v52 dst_sel:DWORD dst_unused:UNUSED_PAD src0_sel:BYTE_0 src1_sel:DWORD
	v_lshrrev_b16_e32 v140, 10, v16
	v_mul_lo_u16_e32 v16, 25, v140
	v_sub_u16_e32 v141, v100, v16
	v_lshlrev_b32_sdwa v78, v129, v141 dst_sel:DWORD dst_unused:UNUSED_PAD src0_sel:DWORD src1_sel:BYTE_0
	s_waitcnt lgkmcnt(0)
	s_barrier
	global_load_dwordx4 v[16:19], v78, s[8:9] offset:336
	v_mul_lo_u16_sdwa v52, v134, v52 dst_sel:DWORD dst_unused:UNUSED_PAD src0_sel:BYTE_0 src1_sel:DWORD
	v_lshrrev_b16_e32 v52, 10, v52
	v_mul_lo_u16_e32 v53, 25, v52
	v_sub_u16_e32 v53, v134, v53
	v_lshlrev_b32_sdwa v79, v129, v53 dst_sel:DWORD dst_unused:UNUSED_PAD src0_sel:DWORD src1_sel:BYTE_0
	global_load_dwordx4 v[58:61], v79, s[8:9] offset:336
	global_load_dwordx4 v[62:65], v78, s[8:9] offset:368
	;; [unrolled: 1-line block ×3, first 2 shown]
	v_mul_u32_u24_sdwa v54, v135, s0 dst_sel:DWORD dst_unused:UNUSED_PAD src0_sel:WORD_0 src1_sel:DWORD
	v_sub_u16_sdwa v55, v135, v54 dst_sel:DWORD dst_unused:UNUSED_PAD src0_sel:DWORD src1_sel:WORD_1
	v_lshrrev_b16_e32 v55, 1, v55
	v_add_u16_sdwa v54, v55, v54 dst_sel:DWORD dst_unused:UNUSED_PAD src0_sel:DWORD src1_sel:WORD_1
	global_load_dwordx4 v[70:73], v79, s[8:9] offset:368
	v_lshrrev_b16_e32 v55, 4, v54
	v_mul_lo_u16_e32 v54, 25, v55
	v_sub_u16_e32 v54, v135, v54
	v_lshlrev_b32_e32 v80, 6, v54
	global_load_dwordx4 v[74:77], v80, s[8:9] offset:320
	global_load_dwordx4 v[86:89], v79, s[8:9] offset:352
	global_load_dwordx4 v[116:119], v80, s[8:9] offset:336
	v_mul_u32_u24_sdwa v79, v136, s0 dst_sel:DWORD dst_unused:UNUSED_PAD src0_sel:WORD_0 src1_sel:DWORD
	v_sub_u16_sdwa v81, v136, v79 dst_sel:DWORD dst_unused:UNUSED_PAD src0_sel:DWORD src1_sel:WORD_1
	v_lshrrev_b16_e32 v81, 1, v81
	v_add_u16_sdwa v79, v81, v79 dst_sel:DWORD dst_unused:UNUSED_PAD src0_sel:DWORD src1_sel:WORD_1
	global_load_dwordx4 v[120:123], v80, s[8:9] offset:352
	v_lshrrev_b16_e32 v137, 4, v79
	v_mul_lo_u16_e32 v79, 25, v137
	v_sub_u16_e32 v129, v136, v79
	v_lshlrev_b32_e32 v82, 6, v129
	global_load_dwordx4 v[124:127], v82, s[8:9] offset:336
	global_load_dwordx4 v[150:153], v80, s[8:9] offset:368
                                        ; kill: killed $vgpr80
	global_load_dwordx4 v[154:157], v82, s[8:9] offset:368
	global_load_dwordx4 v[158:161], v82, s[8:9] offset:320
	v_mul_u32_u24_sdwa v79, v132, s0 dst_sel:DWORD dst_unused:UNUSED_PAD src0_sel:WORD_0 src1_sel:DWORD
	v_sub_u16_sdwa v80, v132, v79 dst_sel:DWORD dst_unused:UNUSED_PAD src0_sel:DWORD src1_sel:WORD_1
	v_lshrrev_b16_e32 v80, 1, v80
	v_add_u16_sdwa v79, v80, v79 dst_sel:DWORD dst_unused:UNUSED_PAD src0_sel:DWORD src1_sel:WORD_1
	v_lshrrev_b16_e32 v139, 4, v79
	v_mul_lo_u16_e32 v79, 25, v139
	v_sub_u16_e32 v138, v132, v79
	v_lshlrev_b32_e32 v94, 6, v138
	global_load_dwordx4 v[162:165], v94, s[8:9] offset:320
	global_load_dwordx4 v[166:169], v78, s[8:9] offset:352
	;; [unrolled: 1-line block ×6, first 2 shown]
	ds_read2_b64 v[78:81], v130 offset0:98 offset1:223
	ds_read2_b64 v[82:85], v131 offset0:68 offset1:193
	global_load_dwordx4 v[186:189], v94, s[8:9] offset:368
	s_waitcnt vmcnt(19) lgkmcnt(1)
	v_mul_f64 v[90:91], v[78:79], v[18:19]
	v_mul_f64 v[18:19], v[48:49], v[18:19]
	s_waitcnt vmcnt(18)
	v_mul_f64 v[92:93], v[80:81], v[60:61]
	v_mul_f64 v[60:61], v[50:51], v[60:61]
	v_fma_f64 v[48:49], v[48:49], v[16:17], v[90:91]
	s_waitcnt vmcnt(17) lgkmcnt(0)
	v_mul_f64 v[90:91], v[82:83], v[64:65]
	v_fma_f64 v[112:113], v[78:79], v[16:17], -v[18:19]
	ds_read2_b64 v[16:19], v142 offset0:110 offset1:235
	v_fma_f64 v[96:97], v[50:51], v[58:59], v[92:93]
	v_mul_f64 v[64:65], v[44:45], v[64:65]
	v_fma_f64 v[92:93], v[80:81], v[58:59], -v[60:61]
	ds_read2_b64 v[58:61], v133 offset0:80 offset1:205
	s_waitcnt vmcnt(16) lgkmcnt(1)
	v_mul_f64 v[80:81], v[16:17], v[68:69]
	v_fma_f64 v[50:51], v[44:45], v[62:63], v[90:91]
	s_waitcnt vmcnt(15)
	v_mul_f64 v[44:45], v[46:47], v[72:73]
	v_mul_f64 v[68:69], v[40:41], v[68:69]
	s_waitcnt vmcnt(14)
	v_mul_f64 v[90:91], v[18:19], v[76:77]
	v_mul_f64 v[76:77], v[42:43], v[76:77]
	;; [unrolled: 1-line block ×3, first 2 shown]
	v_fma_f64 v[114:115], v[82:83], v[62:63], -v[64:65]
	v_fma_f64 v[110:111], v[40:41], v[66:67], v[80:81]
	s_waitcnt vmcnt(11) lgkmcnt(0)
	v_mul_f64 v[62:63], v[60:61], v[122:123]
	v_fma_f64 v[72:73], v[84:85], v[70:71], -v[44:45]
	v_mul_f64 v[44:45], v[58:59], v[88:89]
	v_fma_f64 v[104:105], v[16:17], v[66:67], -v[68:69]
	v_fma_f64 v[80:81], v[18:19], v[74:75], -v[76:77]
	ds_read2_b64 v[16:19], v145 offset0:92 offset1:217
	v_fma_f64 v[106:107], v[46:47], v[70:71], v[78:79]
	v_mul_f64 v[46:47], v[36:37], v[88:89]
	v_mul_f64 v[64:65], v[32:33], v[118:119]
	v_fma_f64 v[84:85], v[42:43], v[74:75], v[90:91]
	v_fma_f64 v[108:109], v[36:37], v[86:87], v[44:45]
	s_waitcnt lgkmcnt(0)
	v_mul_f64 v[44:45], v[16:17], v[118:119]
	s_waitcnt vmcnt(10)
	v_mul_f64 v[66:67], v[18:19], v[126:127]
	v_mul_f64 v[36:37], v[38:39], v[122:123]
	ds_read2_b64 v[40:43], v144 offset0:62 offset1:187
	v_fma_f64 v[94:95], v[58:59], v[86:87], -v[46:47]
	v_fma_f64 v[88:89], v[38:39], v[120:121], v[62:63]
	v_mul_f64 v[38:39], v[34:35], v[126:127]
	v_fma_f64 v[86:87], v[16:17], v[116:117], -v[64:65]
	v_fma_f64 v[90:91], v[32:33], v[116:117], v[44:45]
	v_fma_f64 v[68:69], v[34:35], v[124:125], v[66:67]
	s_waitcnt vmcnt(9)
	v_mul_f64 v[16:17], v[28:29], v[152:153]
	ds_read2_b64 v[32:35], v148 offset0:104 offset1:229
	s_waitcnt lgkmcnt(1)
	v_mul_f64 v[46:47], v[40:41], v[152:153]
	v_fma_f64 v[82:83], v[60:61], v[120:121], -v[36:37]
	v_fma_f64 v[64:65], v[18:19], v[124:125], -v[38:39]
	s_waitcnt vmcnt(8)
	v_mul_f64 v[18:19], v[42:43], v[156:157]
	s_waitcnt vmcnt(7) lgkmcnt(0)
	v_mul_f64 v[44:45], v[32:33], v[160:161]
	ds_read2_b64 v[36:39], v147 offset0:86 offset1:211
	v_fma_f64 v[78:79], v[40:41], v[150:151], -v[16:17]
	s_waitcnt vmcnt(6)
	v_mul_f64 v[16:17], v[34:35], v[164:165]
	v_fma_f64 v[98:99], v[28:29], v[150:151], v[46:47]
	v_mul_f64 v[46:47], v[24:25], v[160:161]
	v_mul_f64 v[40:41], v[26:27], v[164:165]
	;; [unrolled: 1-line block ×3, first 2 shown]
	v_fma_f64 v[76:77], v[24:25], v[158:159], v[44:45]
	s_waitcnt vmcnt(5) lgkmcnt(0)
	v_mul_f64 v[24:25], v[38:39], v[168:169]
	v_fma_f64 v[74:75], v[30:31], v[154:155], v[18:19]
	v_fma_f64 v[62:63], v[26:27], v[162:163], v[16:17]
	ds_read2_b64 v[16:19], v146 offset0:116 offset1:241
	v_fma_f64 v[70:71], v[32:33], v[158:159], -v[46:47]
	v_fma_f64 v[60:61], v[34:35], v[162:163], -v[40:41]
	s_waitcnt vmcnt(4)
	v_mul_f64 v[32:33], v[36:37], v[172:173]
	s_waitcnt vmcnt(3)
	v_mul_f64 v[40:41], v[2:3], v[176:177]
	s_waitcnt lgkmcnt(0)
	v_mul_f64 v[34:35], v[18:19], v[176:177]
	v_fma_f64 v[24:25], v[22:23], v[166:167], v[24:25]
	v_fma_f64 v[58:59], v[42:43], v[154:155], -v[28:29]
	ds_read2_b64 v[26:29], v149 offset0:74 offset1:199
	v_mul_f64 v[30:31], v[22:23], v[168:169]
	v_mul_f64 v[42:43], v[20:21], v[172:173]
	s_waitcnt vmcnt(2)
	v_mul_f64 v[46:47], v[12:13], v[180:181]
	v_fma_f64 v[66:67], v[20:21], v[170:171], v[32:33]
	s_waitcnt lgkmcnt(0)
	v_mul_f64 v[44:45], v[26:27], v[180:181]
	v_fma_f64 v[2:3], v[2:3], v[174:175], v[34:35]
	v_add_f64 v[20:21], v[48:49], v[24:25]
	v_fma_f64 v[34:35], v[18:19], v[174:175], -v[40:41]
	v_fma_f64 v[22:23], v[38:39], v[166:167], -v[30:31]
	ds_read_b64 v[18:19], v101 offset:24000
	v_fma_f64 v[118:119], v[26:27], v[178:179], -v[46:47]
	v_fma_f64 v[116:117], v[36:37], v[170:171], -v[42:43]
	v_fma_f64 v[122:123], v[12:13], v[178:179], v[44:45]
	v_add_f64 v[26:27], v[8:9], v[2:3]
	v_fma_f64 v[30:31], v[20:21], -0.5, v[8:9]
	v_add_f64 v[32:33], v[34:35], -v[114:115]
	v_add_f64 v[44:45], v[2:3], v[50:51]
	s_waitcnt vmcnt(1)
	v_mul_f64 v[12:13], v[28:29], v[184:185]
	v_mul_f64 v[20:21], v[14:15], v[184:185]
	s_waitcnt vmcnt(0) lgkmcnt(0)
	v_mul_f64 v[36:37], v[18:19], v[188:189]
	v_mul_f64 v[38:39], v[56:57], v[188:189]
	v_add_f64 v[40:41], v[2:3], -v[48:49]
	v_add_f64 v[42:43], v[50:51], -v[24:25]
	v_add_f64 v[26:27], v[26:27], v[48:49]
	v_fma_f64 v[46:47], v[32:33], s[4:5], v[30:31]
	v_add_f64 v[150:151], v[112:113], -v[22:23]
	v_fma_f64 v[8:9], v[44:45], -0.5, v[8:9]
	v_fma_f64 v[124:125], v[14:15], v[182:183], v[12:13]
	v_fma_f64 v[120:121], v[28:29], v[182:183], -v[20:21]
	v_fma_f64 v[126:127], v[56:57], v[186:187], v[36:37]
	v_fma_f64 v[56:57], v[18:19], v[186:187], -v[38:39]
	v_add_f64 v[12:13], v[40:41], v[42:43]
	v_add_f64 v[14:15], v[26:27], v[24:25]
	v_fma_f64 v[18:19], v[150:151], s[6:7], v[46:47]
	v_add_f64 v[26:27], v[48:49], -v[2:3]
	v_add_f64 v[28:29], v[24:25], -v[50:51]
	v_fma_f64 v[36:37], v[150:151], s[12:13], v[8:9]
	v_fma_f64 v[8:9], v[150:151], s[4:5], v[8:9]
	;; [unrolled: 1-line block ×3, first 2 shown]
	v_mul_u32_u24_e32 v20, 0x3e8, v140
	v_add_f64 v[14:15], v[14:15], v[50:51]
	v_fma_f64 v[38:39], v[12:13], s[14:15], v[18:19]
	v_lshlrev_b32_sdwa v21, v128, v141 dst_sel:DWORD dst_unused:UNUSED_PAD src0_sel:DWORD src1_sel:BYTE_0
	v_add_f64 v[26:27], v[26:27], v[28:29]
	v_fma_f64 v[28:29], v[32:33], s[6:7], v[36:37]
	v_add_f64 v[36:37], v[96:97], v[108:109]
	v_fma_f64 v[8:9], v[32:33], s[10:11], v[8:9]
	v_add_f64 v[32:33], v[110:111], v[106:107]
	v_add3_u32 v140, 0, v20, v21
	ds_read2_b64 v[44:47], v101 offset1:125
	ds_read2_b64 v[18:21], v143 offset0:122 offset1:247
	s_waitcnt lgkmcnt(0)
	s_barrier
	ds_write2_b64 v140, v[14:15], v[38:39] offset1:25
	v_fma_f64 v[14:15], v[26:27], s[14:15], v[28:29]
	v_fma_f64 v[28:29], v[36:37], -0.5, v[10:11]
	v_add_f64 v[36:37], v[10:11], v[110:111]
	v_add_f64 v[38:39], v[104:105], -v[72:73]
	v_fma_f64 v[30:31], v[150:151], s[10:11], v[30:31]
	v_fma_f64 v[8:9], v[26:27], s[14:15], v[8:9]
	v_fma_f64 v[10:11], v[32:33], -0.5, v[10:11]
	v_add_f64 v[26:27], v[92:93], -v[94:95]
	v_add_f64 v[32:33], v[110:111], -v[96:97]
	;; [unrolled: 1-line block ×3, first 2 shown]
	v_add_f64 v[36:37], v[36:37], v[96:97]
	v_fma_f64 v[42:43], v[38:39], s[4:5], v[28:29]
	v_fma_f64 v[12:13], v[12:13], s[14:15], v[30:31]
	v_add_f64 v[30:31], v[96:97], -v[110:111]
	v_add_f64 v[150:151], v[108:109], -v[106:107]
	v_fma_f64 v[152:153], v[26:27], s[12:13], v[10:11]
	v_fma_f64 v[10:11], v[26:27], s[4:5], v[10:11]
	v_add_f64 v[32:33], v[32:33], v[40:41]
	v_add_f64 v[36:37], v[36:37], v[108:109]
	v_fma_f64 v[40:41], v[26:27], s[6:7], v[42:43]
	ds_write2_b64 v140, v[14:15], v[8:9] offset0:50 offset1:75
	ds_write_b64 v140, v[12:13] offset:800
	v_fma_f64 v[28:29], v[38:39], s[12:13], v[28:29]
	v_add_f64 v[8:9], v[30:31], v[150:151]
	v_fma_f64 v[12:13], v[38:39], s[6:7], v[152:153]
	v_fma_f64 v[10:11], v[38:39], s[10:11], v[10:11]
	v_lshlrev_b32_sdwa v42, v128, v53 dst_sel:DWORD dst_unused:UNUSED_PAD src0_sel:DWORD src1_sel:BYTE_0
	v_add_f64 v[14:15], v[36:37], v[106:107]
	v_fma_f64 v[30:31], v[32:33], s[14:15], v[40:41]
	v_add_f64 v[36:37], v[90:91], v[88:89]
	v_mul_u32_u24_e32 v38, 0x3e8, v52
	v_add3_u32 v141, 0, v38, v42
	v_fma_f64 v[12:13], v[8:9], s[14:15], v[12:13]
	v_fma_f64 v[8:9], v[8:9], s[14:15], v[10:11]
	v_add_f64 v[10:11], v[84:85], v[98:99]
	v_add_f64 v[38:39], v[88:89], -v[98:99]
	ds_write2_b64 v141, v[14:15], v[30:31] offset1:25
	v_fma_f64 v[14:15], v[26:27], s[10:11], v[28:29]
	v_add_f64 v[26:27], v[4:5], v[84:85]
	v_fma_f64 v[28:29], v[36:37], -0.5, v[4:5]
	v_add_f64 v[30:31], v[80:81], -v[78:79]
	ds_write2_b64 v141, v[12:13], v[8:9] offset0:50 offset1:75
	v_add_f64 v[8:9], v[86:87], -v[82:83]
	v_fma_f64 v[4:5], v[10:11], -0.5, v[4:5]
	v_add_f64 v[10:11], v[84:85], -v[90:91]
	v_add_f64 v[12:13], v[98:99], -v[88:89]
	v_fma_f64 v[14:15], v[32:33], s[14:15], v[14:15]
	v_add_f64 v[26:27], v[26:27], v[90:91]
	v_fma_f64 v[32:33], v[30:31], s[4:5], v[28:29]
	v_add_f64 v[36:37], v[90:91], -v[84:85]
	v_fma_f64 v[28:29], v[30:31], s[12:13], v[28:29]
	v_fma_f64 v[40:41], v[8:9], s[12:13], v[4:5]
	;; [unrolled: 1-line block ×3, first 2 shown]
	v_add_f64 v[10:11], v[10:11], v[12:13]
	ds_write_b64 v141, v[14:15] offset:800
	v_add_f64 v[12:13], v[26:27], v[88:89]
	v_fma_f64 v[14:15], v[8:9], s[6:7], v[32:33]
	v_add_f64 v[26:27], v[36:37], v[38:39]
	v_mul_u32_u24_e32 v42, 0x3e8, v55
	v_fma_f64 v[32:33], v[30:31], s[6:7], v[40:41]
	v_fma_f64 v[4:5], v[30:31], s[10:11], v[4:5]
	v_add_f64 v[30:31], v[68:69], v[122:123]
	v_lshlrev_b32_e32 v36, 3, v54
	v_add_f64 v[12:13], v[12:13], v[98:99]
	v_fma_f64 v[14:15], v[10:11], s[14:15], v[14:15]
	v_add3_u32 v164, 0, v42, v36
	v_fma_f64 v[8:9], v[8:9], s[10:11], v[28:29]
	v_fma_f64 v[32:33], v[26:27], s[14:15], v[32:33]
	;; [unrolled: 1-line block ×3, first 2 shown]
	v_add_f64 v[26:27], v[76:77], v[74:75]
	v_fma_f64 v[28:29], v[30:31], -0.5, v[6:7]
	v_add_f64 v[38:39], v[6:7], v[76:77]
	v_add_f64 v[40:41], v[70:71], -v[58:59]
	v_add_f64 v[30:31], v[76:77], -v[68:69]
	;; [unrolled: 1-line block ×3, first 2 shown]
	ds_write2_b64 v164, v[12:13], v[14:15] offset1:25
	v_add_f64 v[12:13], v[64:65], -v[118:119]
	v_fma_f64 v[6:7], v[26:27], -0.5, v[6:7]
	ds_write2_b64 v164, v[32:33], v[4:5] offset0:50 offset1:75
	v_fma_f64 v[4:5], v[10:11], s[14:15], v[8:9]
	v_add_f64 v[10:11], v[38:39], v[68:69]
	v_fma_f64 v[14:15], v[40:41], s[4:5], v[28:29]
	v_add_f64 v[8:9], v[30:31], v[36:37]
	v_add_f64 v[26:27], v[68:69], -v[76:77]
	v_add_f64 v[30:31], v[122:123], -v[74:75]
	v_fma_f64 v[32:33], v[12:13], s[12:13], v[6:7]
	v_fma_f64 v[6:7], v[12:13], s[4:5], v[6:7]
	ds_write_b64 v164, v[4:5] offset:800
	v_add_f64 v[4:5], v[10:11], v[122:123]
	v_fma_f64 v[10:11], v[12:13], s[6:7], v[14:15]
	v_fma_f64 v[14:15], v[40:41], s[12:13], v[28:29]
	v_mul_u32_u24_e32 v36, 0x3e8, v137
	v_add_f64 v[26:27], v[26:27], v[30:31]
	v_fma_f64 v[28:29], v[40:41], s[6:7], v[32:33]
	v_fma_f64 v[6:7], v[40:41], s[10:11], v[6:7]
	v_lshlrev_b32_e32 v30, 3, v129
	v_add_f64 v[4:5], v[4:5], v[74:75]
	v_fma_f64 v[10:11], v[8:9], s[14:15], v[10:11]
	v_fma_f64 v[12:13], v[12:13], s[10:11], v[14:15]
	v_add_f64 v[14:15], v[66:67], v[124:125]
	v_add3_u32 v165, 0, v36, v30
	v_fma_f64 v[28:29], v[26:27], s[14:15], v[28:29]
	v_fma_f64 v[6:7], v[26:27], s[14:15], v[6:7]
	v_add_f64 v[26:27], v[62:63], v[126:127]
	v_add_f64 v[30:31], v[0:1], v[62:63]
	v_add_f64 v[32:33], v[62:63], -v[66:67]
	v_fma_f64 v[8:9], v[8:9], s[14:15], v[12:13]
	v_fma_f64 v[12:13], v[14:15], -0.5, v[0:1]
	v_add_f64 v[14:15], v[60:61], -v[56:57]
	v_add_f64 v[36:37], v[126:127], -v[124:125]
	ds_write2_b64 v165, v[4:5], v[10:11] offset1:25
	ds_write2_b64 v165, v[28:29], v[6:7] offset0:50 offset1:75
	v_fma_f64 v[0:1], v[26:27], -0.5, v[0:1]
	v_add_f64 v[10:11], v[116:117], -v[120:121]
	v_add_f64 v[26:27], v[66:67], -v[62:63]
	v_add_f64 v[28:29], v[124:125], -v[126:127]
	v_add_f64 v[4:5], v[30:31], v[66:67]
	ds_write_b64 v165, v[8:9] offset:800
	v_fma_f64 v[8:9], v[14:15], s[4:5], v[12:13]
	v_add_f64 v[6:7], v[32:33], v[36:37]
	v_fma_f64 v[12:13], v[14:15], s[12:13], v[12:13]
	v_fma_f64 v[32:33], v[10:11], s[12:13], v[0:1]
	;; [unrolled: 1-line block ×3, first 2 shown]
	v_add_f64 v[26:27], v[26:27], v[28:29]
	v_add_f64 v[28:29], v[44:45], v[34:35]
	;; [unrolled: 1-line block ×3, first 2 shown]
	v_fma_f64 v[8:9], v[10:11], s[6:7], v[8:9]
	v_add_f64 v[150:151], v[2:3], -v[50:51]
	v_fma_f64 v[10:11], v[10:11], s[10:11], v[12:13]
	v_fma_f64 v[2:3], v[14:15], s[6:7], v[32:33]
	;; [unrolled: 1-line block ×3, first 2 shown]
	v_add_f64 v[30:31], v[112:113], v[22:23]
	v_add_f64 v[14:15], v[28:29], v[112:113]
	;; [unrolled: 1-line block ×3, first 2 shown]
	v_fma_f64 v[8:9], v[6:7], s[14:15], v[8:9]
	v_mul_u32_u24_e32 v36, 0x3e8, v139
	v_fma_f64 v[6:7], v[6:7], s[14:15], v[10:11]
	v_fma_f64 v[2:3], v[26:27], s[14:15], v[2:3]
	;; [unrolled: 1-line block ×3, first 2 shown]
	v_fma_f64 v[152:153], v[30:31], -0.5, v[44:45]
	v_add_f64 v[10:11], v[14:15], v[22:23]
	v_lshlrev_b32_e32 v14, 3, v138
	v_add3_u32 v139, 0, v36, v14
	ds_write2_b64 v139, v[4:5], v[8:9] offset1:25
	ds_write2_b64 v139, v[2:3], v[0:1] offset0:50 offset1:75
	ds_write_b64 v139, v[6:7] offset:800
	v_add_f64 v[4:5], v[34:35], v[114:115]
	v_add_f64 v[154:155], v[48:49], -v[24:25]
	v_add_f64 v[12:13], v[34:35], -v[112:113]
	v_add_f64 v[24:25], v[114:115], -v[22:23]
	v_fma_f64 v[28:29], v[150:151], s[12:13], v[152:153]
	v_add_f64 v[137:138], v[10:11], v[114:115]
	v_add_f64 v[112:113], v[112:113], -v[34:35]
	v_add_f64 v[114:115], v[22:23], -v[114:115]
	v_fma_f64 v[4:5], v[4:5], -0.5, v[44:45]
	s_waitcnt lgkmcnt(0)
	s_barrier
	v_add_f64 v[156:157], v[12:13], v[24:25]
	v_fma_f64 v[12:13], v[154:155], s[10:11], v[28:29]
	ds_read_b64 v[128:129], v101 offset:24000
	ds_read2_b64 v[8:11], v101 offset1:125
	ds_read2_b64 v[0:3], v146 offset0:116 offset1:241
	v_add_f64 v[112:113], v[112:113], v[114:115]
	v_fma_f64 v[160:161], v[154:155], s[4:5], v[4:5]
	v_fma_f64 v[162:163], v[154:155], s[12:13], v[4:5]
	v_add_f64 v[106:107], v[110:111], -v[106:107]
	v_add_f64 v[96:97], v[96:97], -v[108:109]
	v_fma_f64 v[158:159], v[156:157], s[14:15], v[12:13]
	ds_read2_b64 v[52:55], v130 offset0:98 offset1:223
	ds_read2_b64 v[26:29], v147 offset0:86 offset1:211
	;; [unrolled: 1-line block ×10, first 2 shown]
	s_waitcnt lgkmcnt(0)
	v_fma_f64 v[114:115], v[150:151], s[10:11], v[160:161]
	v_fma_f64 v[160:161], v[150:151], s[6:7], v[162:163]
	v_add_f64 v[162:163], v[92:93], v[94:95]
	v_fma_f64 v[150:151], v[150:151], s[4:5], v[152:153]
	s_barrier
	ds_write2_b64 v140, v[137:138], v[158:159] offset1:25
	v_add_f64 v[152:153], v[104:105], -v[92:93]
	v_fma_f64 v[114:115], v[112:113], s[14:15], v[114:115]
	v_fma_f64 v[112:113], v[112:113], s[14:15], v[160:161]
	v_fma_f64 v[137:138], v[162:163], -0.5, v[46:47]
	v_fma_f64 v[110:111], v[154:155], s[6:7], v[150:151]
	v_add_f64 v[150:151], v[104:105], v[72:73]
	v_add_f64 v[154:155], v[72:73], -v[94:95]
	v_add_f64 v[158:159], v[46:47], v[104:105]
	v_add_f64 v[84:85], v[84:85], -v[98:99]
	v_add_f64 v[98:99], v[18:19], v[80:81]
	ds_write2_b64 v140, v[114:115], v[112:113] offset0:50 offset1:75
	v_fma_f64 v[108:109], v[106:107], s[12:13], v[137:138]
	v_fma_f64 v[112:113], v[106:107], s[4:5], v[137:138]
	v_fma_f64 v[46:47], v[150:151], -0.5, v[46:47]
	v_add_f64 v[114:115], v[152:153], v[154:155]
	v_add_f64 v[137:138], v[158:159], v[92:93]
	v_add_f64 v[92:93], v[92:93], -v[104:105]
	v_add_f64 v[104:105], v[94:95], -v[72:73]
	v_add_f64 v[150:151], v[86:87], v[82:83]
	v_fma_f64 v[108:109], v[96:97], s[10:11], v[108:109]
	v_fma_f64 v[112:113], v[96:97], s[6:7], v[112:113]
	;; [unrolled: 1-line block ×4, first 2 shown]
	v_add_f64 v[96:97], v[80:81], v[78:79]
	v_add_f64 v[88:89], v[90:91], -v[88:89]
	v_add_f64 v[92:93], v[92:93], v[104:105]
	v_fma_f64 v[104:105], v[150:151], -0.5, v[18:19]
	v_add_f64 v[90:91], v[80:81], -v[86:87]
	v_add_f64 v[98:99], v[98:99], v[86:87]
	v_add_f64 v[80:81], v[86:87], -v[80:81]
	v_add_f64 v[86:87], v[82:83], -v[78:79]
	v_fma_f64 v[18:19], v[96:97], -0.5, v[18:19]
	v_add_f64 v[94:95], v[137:138], v[94:95]
	v_fma_f64 v[137:138], v[106:107], s[10:11], v[152:153]
	v_fma_f64 v[46:47], v[106:107], s[6:7], v[46:47]
	v_add_f64 v[96:97], v[78:79], -v[82:83]
	v_fma_f64 v[106:107], v[84:85], s[12:13], v[104:105]
	v_fma_f64 v[104:105], v[84:85], s[4:5], v[104:105]
	v_add_f64 v[80:81], v[80:81], v[86:87]
	v_fma_f64 v[150:151], v[88:89], s[4:5], v[18:19]
	v_fma_f64 v[18:19], v[88:89], s[12:13], v[18:19]
	v_add_f64 v[72:73], v[94:95], v[72:73]
	v_add_f64 v[82:83], v[98:99], v[82:83]
	;; [unrolled: 1-line block ×3, first 2 shown]
	v_fma_f64 v[94:95], v[88:89], s[10:11], v[106:107]
	v_fma_f64 v[88:89], v[88:89], s[6:7], v[104:105]
	v_add_f64 v[74:75], v[76:77], -v[74:75]
	v_fma_f64 v[86:87], v[84:85], s[10:11], v[150:151]
	v_fma_f64 v[18:19], v[84:85], s[6:7], v[18:19]
	v_add_f64 v[84:85], v[64:65], v[118:119]
	v_add_f64 v[76:77], v[70:71], v[58:59]
	v_fma_f64 v[104:105], v[92:93], s[14:15], v[137:138]
	v_fma_f64 v[46:47], v[92:93], s[14:15], v[46:47]
	v_add_f64 v[78:79], v[82:83], v[78:79]
	v_fma_f64 v[82:83], v[90:91], s[14:15], v[94:95]
	v_fma_f64 v[88:89], v[90:91], s[14:15], v[88:89]
	v_add_f64 v[90:91], v[70:71], -v[64:65]
	v_fma_f64 v[84:85], v[84:85], -0.5, v[20:21]
	v_add_f64 v[92:93], v[58:59], -v[118:119]
	v_add_f64 v[94:95], v[20:21], v[70:71]
	v_fma_f64 v[86:87], v[80:81], s[14:15], v[86:87]
	v_fma_f64 v[18:19], v[80:81], s[14:15], v[18:19]
	v_add_f64 v[68:69], v[68:69], -v[122:123]
	v_fma_f64 v[20:21], v[76:77], -0.5, v[20:21]
	v_add_f64 v[62:63], v[62:63], -v[126:127]
	v_fma_f64 v[80:81], v[74:75], s[12:13], v[84:85]
	v_fma_f64 v[84:85], v[74:75], s[4:5], v[84:85]
	v_add_f64 v[76:77], v[90:91], v[92:93]
	v_add_f64 v[90:91], v[94:95], v[64:65]
	v_add_f64 v[64:65], v[64:65], -v[70:71]
	v_add_f64 v[70:71], v[118:119], -v[58:59]
	v_add_f64 v[92:93], v[116:117], v[120:121]
	v_fma_f64 v[94:95], v[68:69], s[4:5], v[20:21]
	v_fma_f64 v[80:81], v[68:69], s[10:11], v[80:81]
	;; [unrolled: 1-line block ×4, first 2 shown]
	v_add_f64 v[68:69], v[60:61], v[56:57]
	v_add_f64 v[66:67], v[66:67], -v[124:125]
	v_add_f64 v[64:65], v[64:65], v[70:71]
	v_fma_f64 v[70:71], v[92:93], -0.5, v[16:17]
	v_add_f64 v[92:93], v[16:17], v[60:61]
	v_fma_f64 v[96:97], v[114:115], s[14:15], v[108:109]
	v_fma_f64 v[98:99], v[114:115], s[14:15], v[112:113]
	v_add_f64 v[90:91], v[90:91], v[118:119]
	v_fma_f64 v[16:17], v[68:69], -0.5, v[16:17]
	v_fma_f64 v[94:95], v[74:75], s[10:11], v[94:95]
	v_fma_f64 v[20:21], v[74:75], s[6:7], v[20:21]
	v_add_f64 v[68:69], v[60:61], -v[116:117]
	v_add_f64 v[74:75], v[56:57], -v[120:121]
	v_add_f64 v[92:93], v[92:93], v[116:117]
	v_fma_f64 v[106:107], v[62:63], s[12:13], v[70:71]
	v_fma_f64 v[70:71], v[62:63], s[4:5], v[70:71]
	v_add_f64 v[60:61], v[116:117], -v[60:61]
	v_add_f64 v[108:109], v[120:121], -v[56:57]
	v_fma_f64 v[112:113], v[66:67], s[4:5], v[16:17]
	v_fma_f64 v[16:17], v[66:67], s[12:13], v[16:17]
	;; [unrolled: 1-line block ×3, first 2 shown]
	v_add_f64 v[58:59], v[90:91], v[58:59]
	v_add_f64 v[68:69], v[68:69], v[74:75]
	v_fma_f64 v[74:75], v[66:67], s[10:11], v[106:107]
	v_fma_f64 v[66:67], v[66:67], s[6:7], v[70:71]
	v_add_f64 v[70:71], v[92:93], v[120:121]
	v_add_f64 v[60:61], v[60:61], v[108:109]
	v_fma_f64 v[90:91], v[62:63], s[10:11], v[112:113]
	v_fma_f64 v[16:17], v[62:63], s[6:7], v[16:17]
	v_fma_f64 v[62:63], v[76:77], s[14:15], v[80:81]
	v_fma_f64 v[80:81], v[64:65], s[14:15], v[94:95]
	v_fma_f64 v[76:77], v[76:77], s[14:15], v[84:85]
	v_fma_f64 v[20:21], v[64:65], s[14:15], v[20:21]
	v_add_f64 v[56:57], v[70:71], v[56:57]
	v_fma_f64 v[64:65], v[68:69], s[14:15], v[74:75]
	v_fma_f64 v[66:67], v[68:69], s[14:15], v[66:67]
	v_fma_f64 v[68:69], v[60:61], s[14:15], v[90:91]
	v_fma_f64 v[16:17], v[60:61], s[14:15], v[16:17]
	ds_write_b64 v140, v[110:111] offset:800
	ds_write2_b64 v141, v[72:73], v[96:97] offset1:25
	ds_write2_b64 v141, v[104:105], v[46:47] offset0:50 offset1:75
	ds_write_b64 v141, v[98:99] offset:800
	ds_write2_b64 v164, v[78:79], v[82:83] offset1:25
	ds_write2_b64 v164, v[86:87], v[18:19] offset0:50 offset1:75
	;; [unrolled: 3-line block ×4, first 2 shown]
	ds_write_b64 v139, v[66:67] offset:800
	v_lshlrev_b32_e32 v81, 2, v100
	v_mov_b32_e32 v82, 0
	v_lshlrev_b64 v[16:17], 4, v[81:82]
	v_mov_b32_e32 v18, s9
	v_add_co_u32_e64 v78, s[0:1], s8, v16
	v_addc_co_u32_e64 v79, s[0:1], v18, v17, s[0:1]
	s_waitcnt lgkmcnt(0)
	s_barrier
	global_load_dwordx4 v[18:21], v[78:79], off offset:1936
	global_load_dwordx4 v[56:59], v[78:79], off offset:1968
	s_movk_i32 s0, 0x625
	v_mul_u32_u24_sdwa v16, v135, s0 dst_sel:DWORD dst_unused:UNUSED_PAD src0_sel:WORD_0 src1_sel:DWORD
	v_sub_u16_sdwa v17, v135, v16 dst_sel:DWORD dst_unused:UNUSED_PAD src0_sel:DWORD src1_sel:WORD_1
	v_lshrrev_b16_e32 v17, 1, v17
	v_add_u16_sdwa v16, v17, v16 dst_sel:DWORD dst_unused:UNUSED_PAD src0_sel:DWORD src1_sel:WORD_1
	v_lshrrev_b16_e32 v16, 6, v16
	v_mul_lo_u16_e32 v16, 0x7d, v16
	v_sub_u16_e32 v116, v135, v16
	v_mul_u32_u24_sdwa v16, v136, s0 dst_sel:DWORD dst_unused:UNUSED_PAD src0_sel:WORD_0 src1_sel:DWORD
	v_sub_u16_sdwa v17, v136, v16 dst_sel:DWORD dst_unused:UNUSED_PAD src0_sel:DWORD src1_sel:WORD_1
	v_lshrrev_b16_e32 v17, 1, v17
	v_add_u16_sdwa v16, v17, v16 dst_sel:DWORD dst_unused:UNUSED_PAD src0_sel:DWORD src1_sel:WORD_1
	v_lshlrev_b32_e32 v83, 6, v116
	v_lshrrev_b16_e32 v16, 6, v16
	global_load_dwordx4 v[60:63], v83, s[8:9] offset:1936
	v_mul_lo_u16_e32 v16, 0x7d, v16
	v_sub_u16_e32 v99, v136, v16
	v_lshlrev_b32_e32 v16, 6, v99
	global_load_dwordx4 v[64:67], v16, s[8:9] offset:1936
	global_load_dwordx4 v[68:71], v83, s[8:9] offset:1968
	;; [unrolled: 1-line block ×4, first 2 shown]
	v_mul_u32_u24_sdwa v17, v132, s0 dst_sel:DWORD dst_unused:UNUSED_PAD src0_sel:WORD_0 src1_sel:DWORD
	v_sub_u16_sdwa v46, v132, v17 dst_sel:DWORD dst_unused:UNUSED_PAD src0_sel:DWORD src1_sel:WORD_1
	v_lshrrev_b16_e32 v46, 1, v46
	v_add_u16_sdwa v17, v46, v17 dst_sel:DWORD dst_unused:UNUSED_PAD src0_sel:DWORD src1_sel:WORD_1
	v_lshrrev_b16_e32 v17, 6, v17
	v_mul_lo_u16_e32 v17, 0x7d, v17
	v_sub_u16_e32 v117, v132, v17
	v_lshlrev_b32_e32 v17, 6, v117
	global_load_dwordx4 v[91:94], v17, s[8:9] offset:1920
	global_load_dwordx4 v[118:121], v[78:79], off offset:1952
	global_load_dwordx4 v[112:115], v83, s[8:9] offset:1952
	global_load_dwordx4 v[122:125], v17, s[8:9] offset:1936
	global_load_dwordx4 v[137:140], v[78:79], off offset:1920
	global_load_dwordx4 v[150:153], v16, s[8:9] offset:1952
	ds_read2_b64 v[95:98], v130 offset0:98 offset1:223
	global_load_dwordx4 v[154:157], v17, s[8:9] offset:1952
	global_load_dwordx4 v[158:161], v17, s[8:9] offset:1968
	ds_read2_b64 v[162:165], v131 offset0:68 offset1:193
	global_load_dwordx4 v[166:169], v83, s[8:9] offset:1920
	ds_read2_b64 v[170:173], v144 offset0:62 offset1:187
	v_lshl_add_u32 v99, v99, 3, 0
	v_add_u32_e32 v174, 0x3800, v99
	v_add_u32_e32 v175, 0x4000, v99
	v_lshl_add_u32 v176, v117, 3, 0
	v_add_u32_e32 v177, 0x4c00, v176
	v_add_u32_e32 v178, 0x5400, v176
	s_movk_i32 s0, 0x4000
	s_waitcnt vmcnt(15) lgkmcnt(2)
	v_mul_f64 v[46:47], v[97:98], v[20:21]
	v_mul_f64 v[76:77], v[52:53], v[20:21]
	;; [unrolled: 1-line block ×4, first 2 shown]
	s_waitcnt vmcnt(14) lgkmcnt(1)
	v_mul_f64 v[80:81], v[162:163], v[58:59]
	v_fma_f64 v[106:107], v[54:55], v[18:19], v[46:47]
	v_fma_f64 v[46:47], v[95:96], v[18:19], -v[76:77]
	v_mul_f64 v[76:77], v[164:165], v[58:59]
	v_fma_f64 v[16:17], v[52:53], v[18:19], v[16:17]
	ds_read2_b64 v[52:55], v145 offset0:92 offset1:217
	v_fma_f64 v[108:109], v[97:98], v[18:19], -v[20:21]
	v_mul_f64 v[20:21], v[48:49], v[58:59]
	v_mul_f64 v[58:59], v[50:51], v[58:59]
	v_fma_f64 v[18:19], v[48:49], v[56:57], v[80:81]
	s_waitcnt vmcnt(13) lgkmcnt(0)
	v_mul_f64 v[80:81], v[52:53], v[62:63]
	v_fma_f64 v[110:111], v[50:51], v[56:57], v[76:77]
	v_mul_f64 v[50:51], v[42:43], v[62:63]
	s_waitcnt vmcnt(12)
	v_mul_f64 v[62:63], v[54:55], v[66:67]
	s_waitcnt vmcnt(10)
	v_mul_f64 v[76:77], v[40:41], v[74:75]
	v_fma_f64 v[48:49], v[162:163], v[56:57], -v[20:21]
	v_mul_f64 v[20:21], v[44:45], v[66:67]
	v_mul_f64 v[66:67], v[172:173], v[74:75]
	v_fma_f64 v[97:98], v[164:165], v[56:57], -v[58:59]
	v_fma_f64 v[89:90], v[42:43], v[60:61], v[80:81]
	v_mul_f64 v[56:57], v[170:171], v[70:71]
	v_fma_f64 v[83:84], v[52:53], v[60:61], -v[50:51]
	v_fma_f64 v[60:61], v[44:45], v[64:65], v[62:63]
	ds_read2_b64 v[42:45], v148 offset0:104 offset1:229
	v_mul_f64 v[58:59], v[38:39], v[70:71]
	v_fma_f64 v[62:63], v[54:55], v[64:65], -v[20:21]
	v_fma_f64 v[70:71], v[40:41], v[72:73], v[66:67]
	ds_read2_b64 v[50:53], v133 offset0:80 offset1:205
	s_waitcnt vmcnt(9) lgkmcnt(1)
	v_mul_f64 v[20:21], v[42:43], v[87:88]
	s_waitcnt vmcnt(8)
	v_mul_f64 v[40:41], v[44:45], v[93:94]
	v_fma_f64 v[95:96], v[38:39], v[68:69], v[56:57]
	v_mul_f64 v[38:39], v[34:35], v[87:88]
	ds_read2_b64 v[64:67], v147 offset0:86 offset1:211
	v_fma_f64 v[74:75], v[170:171], v[68:69], -v[58:59]
	v_fma_f64 v[58:59], v[172:173], v[72:73], -v[76:77]
	v_mul_f64 v[54:55], v[36:37], v[93:94]
	v_fma_f64 v[72:73], v[34:35], v[85:86], v[20:21]
	s_waitcnt vmcnt(6) lgkmcnt(1)
	v_mul_f64 v[20:21], v[52:53], v[114:115]
	v_mul_f64 v[34:35], v[32:33], v[114:115]
	v_fma_f64 v[56:57], v[36:37], v[91:92], v[40:41]
	s_waitcnt lgkmcnt(0)
	v_mul_f64 v[36:37], v[66:67], v[120:121]
	v_mul_f64 v[76:77], v[50:51], v[120:121]
	v_fma_f64 v[68:69], v[42:43], v[85:86], -v[38:39]
	ds_read2_b64 v[40:43], v146 offset0:116 offset1:241
	v_fma_f64 v[54:55], v[44:45], v[91:92], -v[54:55]
	v_fma_f64 v[104:105], v[32:33], v[112:113], v[20:21]
	v_fma_f64 v[91:92], v[52:53], v[112:113], -v[34:35]
	v_mul_f64 v[32:33], v[28:29], v[120:121]
	s_waitcnt vmcnt(5)
	v_mul_f64 v[34:35], v[64:65], v[124:125]
	v_mul_f64 v[38:39], v[26:27], v[124:125]
	v_fma_f64 v[20:21], v[28:29], v[118:119], v[36:37]
	s_waitcnt vmcnt(4) lgkmcnt(0)
	v_mul_f64 v[36:37], v[42:43], v[139:140]
	v_mul_f64 v[44:45], v[2:3], v[139:140]
	v_fma_f64 v[114:115], v[30:31], v[118:119], v[76:77]
	v_mul_f64 v[30:31], v[30:31], v[120:121]
	v_fma_f64 v[32:33], v[66:67], v[118:119], -v[32:33]
	v_fma_f64 v[66:67], v[26:27], v[122:123], v[34:35]
	v_fma_f64 v[64:65], v[64:65], v[122:123], -v[38:39]
	s_waitcnt vmcnt(3)
	v_mul_f64 v[38:39], v[22:23], v[152:153]
	v_fma_f64 v[2:3], v[2:3], v[137:138], v[36:37]
	v_add_f64 v[36:37], v[16:17], v[20:21]
	v_fma_f64 v[34:35], v[42:43], v[137:138], -v[44:45]
	v_fma_f64 v[112:113], v[50:51], v[118:119], -v[30:31]
	ds_read2_b64 v[28:31], v149 offset0:74 offset1:199
	s_waitcnt vmcnt(2)
	v_mul_f64 v[44:45], v[24:25], v[156:157]
	ds_read_b64 v[50:51], v101 offset:24000
	s_waitcnt vmcnt(0)
	v_mul_f64 v[124:125], v[14:15], v[168:169]
	v_add_f64 v[164:165], v[32:33], -v[48:49]
	s_waitcnt lgkmcnt(1)
	v_mul_f64 v[26:27], v[28:29], v[152:153]
	v_mul_f64 v[42:43], v[30:31], v[156:157]
	v_fma_f64 v[87:88], v[28:29], v[150:151], -v[38:39]
	v_fma_f64 v[28:29], v[36:37], -0.5, v[8:9]
	v_add_f64 v[36:37], v[34:35], -v[48:49]
	v_fma_f64 v[76:77], v[30:31], v[154:155], -v[44:45]
	v_add_f64 v[30:31], v[2:3], -v[16:17]
	v_add_f64 v[38:39], v[18:19], -v[20:21]
	v_fma_f64 v[93:94], v[22:23], v[150:151], v[26:27]
	v_add_f64 v[26:27], v[8:9], v[2:3]
	v_fma_f64 v[80:81], v[24:25], v[154:155], v[42:43]
	v_add_f64 v[44:45], v[46:47], -v[32:33]
	v_fma_f64 v[42:43], v[36:37], s[4:5], v[28:29]
	ds_read2_b64 v[22:25], v142 offset0:110 offset1:235
	s_waitcnt lgkmcnt(1)
	v_mul_f64 v[52:53], v[50:51], v[160:161]
	v_add_f64 v[30:31], v[30:31], v[38:39]
	v_add_f64 v[152:153], v[62:63], -v[87:88]
	v_add_f64 v[26:27], v[26:27], v[16:17]
	s_waitcnt lgkmcnt(0)
	v_mul_f64 v[126:127], v[22:23], v[139:140]
	v_mul_f64 v[120:121], v[24:25], v[168:169]
	v_fma_f64 v[38:39], v[44:45], s[6:7], v[42:43]
	v_add_f64 v[42:43], v[2:3], v[18:19]
	v_fma_f64 v[85:86], v[128:129], v[158:159], v[52:53]
	v_mul_f64 v[52:53], v[128:129], v[160:161]
	v_mul_f64 v[128:129], v[12:13], v[139:140]
	v_add_f64 v[26:27], v[26:27], v[20:21]
	v_fma_f64 v[139:140], v[12:13], v[137:138], v[126:127]
	v_fma_f64 v[122:123], v[14:15], v[166:167], v[120:121]
	v_fma_f64 v[120:121], v[24:25], v[166:167], -v[124:125]
	v_fma_f64 v[8:9], v[42:43], -0.5, v[8:9]
	v_fma_f64 v[14:15], v[30:31], s[14:15], v[38:39]
	v_fma_f64 v[118:119], v[50:51], v[158:159], -v[52:53]
	v_fma_f64 v[137:138], v[22:23], v[137:138], -v[128:129]
	v_add_f64 v[12:13], v[26:27], v[18:19]
	v_add_f64 v[22:23], v[16:17], -v[2:3]
	v_add_f64 v[24:25], v[10:11], v[139:140]
	v_add_f64 v[26:27], v[20:21], -v[18:19]
	v_fma_f64 v[38:39], v[44:45], s[12:13], v[8:9]
	v_fma_f64 v[8:9], v[44:45], s[4:5], v[8:9]
	ds_read2_b64 v[125:128], v101 offset1:125
	ds_read2_b64 v[50:53], v143 offset0:122 offset1:247
	s_waitcnt lgkmcnt(0)
	s_barrier
	v_add_f64 v[42:43], v[106:107], v[114:115]
	ds_write2_b64 v101, v[12:13], v[14:15] offset1:125
	v_fma_f64 v[12:13], v[36:37], s[12:13], v[28:29]
	v_add_f64 v[14:15], v[24:25], v[106:107]
	v_add_f64 v[22:23], v[22:23], v[26:27]
	v_fma_f64 v[24:25], v[36:37], s[6:7], v[38:39]
	v_fma_f64 v[8:9], v[36:37], s[10:11], v[8:9]
	v_add_f64 v[26:27], v[139:140], v[110:111]
	v_fma_f64 v[28:29], v[42:43], -0.5, v[10:11]
	v_add_f64 v[36:37], v[137:138], -v[97:98]
	v_fma_f64 v[12:13], v[44:45], s[10:11], v[12:13]
	v_add_f64 v[14:15], v[14:15], v[114:115]
	v_add_f64 v[38:39], v[139:140], -v[106:107]
	v_add_f64 v[42:43], v[110:111], -v[114:115]
	v_fma_f64 v[24:25], v[22:23], s[14:15], v[24:25]
	v_fma_f64 v[8:9], v[22:23], s[14:15], v[8:9]
	v_fma_f64 v[10:11], v[26:27], -0.5, v[10:11]
	v_add_f64 v[26:27], v[108:109], -v[112:113]
	v_fma_f64 v[44:45], v[36:37], s[4:5], v[28:29]
	v_fma_f64 v[12:13], v[30:31], s[14:15], v[12:13]
	v_add_f64 v[14:15], v[14:15], v[110:111]
	v_add_f64 v[22:23], v[38:39], v[42:43]
	v_add_f64 v[30:31], v[106:107], -v[139:140]
	v_add_f64 v[38:39], v[114:115], -v[110:111]
	ds_write2_b64 v143, v[24:25], v[8:9] offset0:122 offset1:247
	v_fma_f64 v[8:9], v[36:37], s[12:13], v[28:29]
	v_fma_f64 v[42:43], v[26:27], s[12:13], v[10:11]
	;; [unrolled: 1-line block ×4, first 2 shown]
	ds_write2_b64 v146, v[12:13], v[14:15] offset0:116 offset1:241
	v_add_f64 v[12:13], v[89:90], v[104:105]
	v_add_f64 v[14:15], v[30:31], v[38:39]
	;; [unrolled: 1-line block ×3, first 2 shown]
	v_fma_f64 v[8:9], v[26:27], s[10:11], v[8:9]
	v_add_f64 v[26:27], v[122:123], v[95:96]
	v_fma_f64 v[24:25], v[36:37], s[6:7], v[42:43]
	v_fma_f64 v[28:29], v[22:23], s[14:15], v[44:45]
	;; [unrolled: 1-line block ×3, first 2 shown]
	v_fma_f64 v[12:13], v[12:13], -0.5, v[4:5]
	v_add_f64 v[38:39], v[122:123], -v[89:90]
	v_add_f64 v[42:43], v[95:96], -v[104:105]
	v_add_f64 v[30:31], v[30:31], v[89:90]
	v_add_f64 v[44:45], v[83:84], -v[91:92]
	v_fma_f64 v[4:5], v[26:27], -0.5, v[4:5]
	v_add_f64 v[36:37], v[120:121], -v[74:75]
	v_fma_f64 v[24:25], v[14:15], s[14:15], v[24:25]
	v_fma_f64 v[10:11], v[14:15], s[14:15], v[10:11]
	;; [unrolled: 1-line block ×3, first 2 shown]
	v_add_f64 v[14:15], v[38:39], v[42:43]
	v_add_f64 v[26:27], v[30:31], v[104:105]
	v_add_f64 v[30:31], v[89:90], -v[122:123]
	v_add_f64 v[38:39], v[104:105], -v[95:96]
	v_fma_f64 v[42:43], v[44:45], s[12:13], v[4:5]
	v_fma_f64 v[4:5], v[44:45], s[4:5], v[4:5]
	;; [unrolled: 1-line block ×3, first 2 shown]
	ds_write2_b64 v142, v[28:29], v[24:25] offset0:110 offset1:235
	ds_write2_b64 v148, v[10:11], v[8:9] offset0:104 offset1:229
	v_add_f64 v[8:9], v[60:61], v[93:94]
	v_add_f64 v[10:11], v[26:27], v[95:96]
	;; [unrolled: 1-line block ×4, first 2 shown]
	v_fma_f64 v[26:27], v[36:37], s[6:7], v[42:43]
	v_fma_f64 v[4:5], v[36:37], s[10:11], v[4:5]
	;; [unrolled: 1-line block ×3, first 2 shown]
	v_add_f64 v[30:31], v[68:69], -v[58:59]
	v_fma_f64 v[8:9], v[8:9], -0.5, v[6:7]
	v_add_f64 v[38:39], v[72:73], -v[60:61]
	v_add_f64 v[28:29], v[28:29], v[60:61]
	v_add_f64 v[42:43], v[70:71], -v[93:94]
	v_fma_f64 v[26:27], v[24:25], s[14:15], v[26:27]
	v_fma_f64 v[4:5], v[24:25], s[14:15], v[4:5]
	v_add_f64 v[24:25], v[72:73], v[70:71]
	v_fma_f64 v[22:23], v[14:15], s[14:15], v[22:23]
	v_fma_f64 v[150:151], v[30:31], s[4:5], v[8:9]
	v_lshl_add_u32 v124, v116, 3, 0
	v_add_u32_e32 v129, 0x2400, v124
	v_add_u32_e32 v141, 0x2c00, v124
	v_add_f64 v[154:155], v[85:86], -v[80:81]
	ds_write2_b64 v141, v[26:27], v[4:5] offset0:92 offset1:217
	v_fma_f64 v[6:7], v[24:25], -0.5, v[6:7]
	ds_write2_b64 v129, v[10:11], v[22:23] offset0:98 offset1:223
	v_add_f64 v[4:5], v[28:29], v[93:94]
	v_add_f64 v[10:11], v[66:67], v[80:81]
	;; [unrolled: 1-line block ×3, first 2 shown]
	v_fma_f64 v[24:25], v[152:153], s[6:7], v[150:151]
	v_add_f64 v[26:27], v[60:61], -v[72:73]
	v_add_f64 v[28:29], v[93:94], -v[70:71]
	v_fma_f64 v[38:39], v[152:153], s[12:13], v[6:7]
	v_fma_f64 v[6:7], v[152:153], s[4:5], v[6:7]
	v_add_f64 v[42:43], v[0:1], v[56:57]
	v_add_f64 v[4:5], v[4:5], v[70:71]
	v_fma_f64 v[10:11], v[10:11], -0.5, v[0:1]
	v_add_f64 v[150:151], v[54:55], -v[118:119]
	v_fma_f64 v[24:25], v[22:23], s[14:15], v[24:25]
	v_add_f64 v[26:27], v[26:27], v[28:29]
	v_fma_f64 v[28:29], v[30:31], s[6:7], v[38:39]
	v_fma_f64 v[6:7], v[30:31], s[10:11], v[6:7]
	v_add_f64 v[38:39], v[56:57], -v[66:67]
	v_add_f64 v[42:43], v[42:43], v[66:67]
	v_add_f64 v[160:161], v[56:57], v[85:86]
	v_fma_f64 v[156:157], v[150:151], s[4:5], v[10:11]
	v_add_f64 v[158:159], v[64:65], -v[76:77]
	ds_write2_b64 v174, v[4:5], v[24:25] offset0:83 offset1:208
	v_fma_f64 v[28:29], v[26:27], s[14:15], v[28:29]
	v_fma_f64 v[6:7], v[26:27], s[14:15], v[6:7]
	v_add_f64 v[26:27], v[38:39], v[154:155]
	v_add_f64 v[38:39], v[42:43], v[80:81]
	v_fma_f64 v[0:1], v[160:161], -0.5, v[0:1]
	v_add_f64 v[4:5], v[66:67], -v[56:57]
	v_add_f64 v[24:25], v[80:81], -v[85:86]
	v_fma_f64 v[42:43], v[158:159], s[6:7], v[156:157]
	v_add_f64 v[162:163], v[46:47], -v[34:35]
	ds_write2_b64 v175, v[28:29], v[6:7] offset0:77 offset1:202
	v_fma_f64 v[8:9], v[30:31], s[12:13], v[8:9]
	v_add_f64 v[6:7], v[38:39], v[85:86]
	v_fma_f64 v[38:39], v[158:159], s[12:13], v[0:1]
	v_fma_f64 v[0:1], v[158:159], s[4:5], v[0:1]
	v_add_f64 v[4:5], v[4:5], v[24:25]
	v_add_f64 v[24:25], v[46:47], v[32:33]
	v_fma_f64 v[28:29], v[26:27], s[14:15], v[42:43]
	v_fma_f64 v[10:11], v[150:151], s[12:13], v[10:11]
	v_add_f64 v[42:43], v[34:35], v[48:49]
	v_add_f64 v[166:167], v[108:109], v[112:113]
	v_fma_f64 v[30:31], v[150:151], s[6:7], v[38:39]
	v_fma_f64 v[0:1], v[150:151], s[10:11], v[0:1]
	v_add_f64 v[150:151], v[2:3], -v[18:19]
	v_fma_f64 v[154:155], v[24:25], -0.5, v[125:126]
	v_add_f64 v[168:169], v[137:138], v[97:98]
	v_add_f64 v[162:163], v[162:163], v[164:165]
	;; [unrolled: 1-line block ×3, first 2 shown]
	v_fma_f64 v[12:13], v[36:37], s[12:13], v[12:13]
	v_add_f64 v[2:3], v[125:126], v[34:35]
	v_fma_f64 v[8:9], v[152:153], s[10:11], v[8:9]
	v_add_f64 v[152:153], v[16:17], -v[20:21]
	v_add_f64 v[16:17], v[34:35], -v[46:47]
	;; [unrolled: 1-line block ×3, first 2 shown]
	v_fma_f64 v[125:126], v[42:43], -0.5, v[125:126]
	v_fma_f64 v[166:167], v[166:167], -0.5, v[127:128]
	v_fma_f64 v[127:128], v[168:169], -0.5, v[127:128]
	v_add_f64 v[110:111], v[139:140], -v[110:111]
	v_add_f64 v[106:107], v[106:107], -v[114:115]
	v_fma_f64 v[114:115], v[150:151], s[4:5], v[154:155]
	v_add_f64 v[139:140], v[164:165], v[108:109]
	v_fma_f64 v[12:13], v[44:45], s[10:11], v[12:13]
	v_add_f64 v[2:3], v[2:3], v[46:47]
	;; [unrolled: 2-line block ×3, first 2 shown]
	v_fma_f64 v[170:171], v[152:153], s[4:5], v[125:126]
	v_fma_f64 v[125:126], v[152:153], s[12:13], v[125:126]
	v_add_f64 v[154:155], v[137:138], -v[108:109]
	v_add_f64 v[108:109], v[108:109], -v[137:138]
	;; [unrolled: 1-line block ×4, first 2 shown]
	v_fma_f64 v[168:169], v[110:111], s[12:13], v[166:167]
	v_fma_f64 v[172:173], v[106:107], s[4:5], v[127:128]
	;; [unrolled: 1-line block ×3, first 2 shown]
	v_add_f64 v[112:113], v[139:140], v[112:113]
	v_fma_f64 v[10:11], v[158:159], s[10:11], v[10:11]
	v_fma_f64 v[24:25], v[4:5], s[14:15], v[30:31]
	;; [unrolled: 1-line block ×4, first 2 shown]
	v_add_f64 v[2:3], v[2:3], v[32:33]
	v_fma_f64 v[12:13], v[152:153], s[10:11], v[20:21]
	v_fma_f64 v[170:171], v[150:151], s[10:11], v[170:171]
	;; [unrolled: 1-line block ×3, first 2 shown]
	v_add_f64 v[137:138], v[154:155], v[137:138]
	v_add_f64 v[108:109], v[108:109], v[164:165]
	v_fma_f64 v[139:140], v[106:107], s[10:11], v[168:169]
	v_fma_f64 v[150:151], v[110:111], s[10:11], v[172:173]
	;; [unrolled: 1-line block ×3, first 2 shown]
	v_add_f64 v[97:98], v[112:113], v[97:98]
	v_fma_f64 v[8:9], v[22:23], s[14:15], v[8:9]
	v_fma_f64 v[10:11], v[26:27], s[14:15], v[10:11]
	ds_write2_b64 v177, v[6:7], v[28:29] offset0:68 offset1:193
	ds_write2_b64 v178, v[24:25], v[0:1] offset0:62 offset1:187
	ds_write_b64 v124, v[4:5] offset:14000
	ds_write_b64 v99, v[8:9] offset:19000
	;; [unrolled: 1-line block ×3, first 2 shown]
	v_add_f64 v[158:159], v[2:3], v[48:49]
	v_fma_f64 v[160:161], v[156:157], s[14:15], v[12:13]
	s_waitcnt lgkmcnt(0)
	s_barrier
	ds_read_b64 v[116:117], v101 offset:24000
	ds_read2_b64 v[0:3], v101 offset1:125
	ds_read2_b64 v[4:7], v146 offset0:116 offset1:241
	ds_read2_b64 v[8:11], v130 offset0:98 offset1:223
	;; [unrolled: 1-line block ×11, first 2 shown]
	s_waitcnt lgkmcnt(0)
	s_barrier
	v_fma_f64 v[152:153], v[162:163], s[14:15], v[170:171]
	v_fma_f64 v[125:126], v[162:163], s[14:15], v[125:126]
	v_fma_f64 v[112:113], v[137:138], s[14:15], v[139:140]
	v_fma_f64 v[139:140], v[108:109], s[14:15], v[150:151]
	v_add_f64 v[150:151], v[83:84], v[91:92]
	ds_write2_b64 v146, v[114:115], v[97:98] offset0:116 offset1:241
	v_add_f64 v[97:98], v[120:121], v[74:75]
	v_add_f64 v[95:96], v[122:123], -v[95:96]
	ds_write2_b64 v143, v[152:153], v[125:126] offset0:122 offset1:247
	v_fma_f64 v[125:126], v[110:111], s[4:5], v[166:167]
	ds_write2_b64 v142, v[112:113], v[139:140] offset0:110 offset1:235
	v_add_f64 v[112:113], v[50:51], v[120:121]
	v_fma_f64 v[114:115], v[150:151], -0.5, v[50:51]
	v_fma_f64 v[122:123], v[106:107], s[12:13], v[127:128]
	v_add_f64 v[89:90], v[89:90], -v[104:105]
	v_fma_f64 v[50:51], v[97:98], -0.5, v[50:51]
	v_add_f64 v[97:98], v[120:121], -v[83:84]
	v_fma_f64 v[106:107], v[106:107], s[6:7], v[125:126]
	v_add_f64 v[104:105], v[74:75], -v[91:92]
	v_add_f64 v[112:113], v[112:113], v[83:84]
	v_fma_f64 v[125:126], v[95:96], s[12:13], v[114:115]
	v_fma_f64 v[114:115], v[95:96], s[4:5], v[114:115]
	;; [unrolled: 1-line block ×5, first 2 shown]
	v_add_f64 v[83:84], v[83:84], -v[120:121]
	v_add_f64 v[120:121], v[91:92], -v[74:75]
	v_add_f64 v[97:98], v[97:98], v[104:105]
	v_fma_f64 v[104:105], v[89:90], s[10:11], v[125:126]
	v_fma_f64 v[89:90], v[89:90], s[6:7], v[114:115]
	v_add_f64 v[91:92], v[112:113], v[91:92]
	v_fma_f64 v[112:113], v[95:96], s[10:11], v[127:128]
	v_add_f64 v[114:115], v[52:53], v[68:69]
	v_fma_f64 v[50:51], v[95:96], s[6:7], v[50:51]
	v_fma_f64 v[95:96], v[137:138], s[14:15], v[106:107]
	;; [unrolled: 1-line block ×3, first 2 shown]
	v_add_f64 v[108:109], v[62:63], v[87:88]
	v_add_f64 v[83:84], v[83:84], v[120:121]
	v_add_f64 v[74:75], v[91:92], v[74:75]
	v_fma_f64 v[91:92], v[97:98], s[14:15], v[104:105]
	v_fma_f64 v[89:90], v[97:98], s[14:15], v[89:90]
	v_add_f64 v[97:98], v[114:115], v[62:63]
	v_add_f64 v[104:105], v[68:69], v[58:59]
	v_add_f64 v[70:71], v[72:73], -v[70:71]
	v_fma_f64 v[108:109], v[108:109], -0.5, v[52:53]
	v_add_f64 v[110:111], v[68:69], -v[62:63]
	v_fma_f64 v[72:73], v[83:84], s[14:15], v[112:113]
	v_fma_f64 v[50:51], v[83:84], s[14:15], v[50:51]
	v_add_f64 v[60:61], v[60:61], -v[93:94]
	v_add_f64 v[83:84], v[97:98], v[87:88]
	v_fma_f64 v[52:53], v[104:105], -0.5, v[52:53]
	v_add_f64 v[62:63], v[62:63], -v[68:69]
	v_fma_f64 v[68:69], v[70:71], s[12:13], v[108:109]
	v_fma_f64 v[97:98], v[70:71], s[4:5], v[108:109]
	v_add_f64 v[104:105], v[64:65], v[76:77]
	v_add_f64 v[108:109], v[54:55], v[118:119]
	v_add_f64 v[114:115], v[58:59], -v[87:88]
	v_add_f64 v[83:84], v[83:84], v[58:59]
	v_add_f64 v[58:59], v[87:88], -v[58:59]
	v_fma_f64 v[87:88], v[60:61], s[4:5], v[52:53]
	v_fma_f64 v[52:53], v[60:61], s[12:13], v[52:53]
	;; [unrolled: 1-line block ×4, first 2 shown]
	v_fma_f64 v[97:98], v[104:105], -0.5, v[40:41]
	v_add_f64 v[104:105], v[40:41], v[54:55]
	v_add_f64 v[56:57], v[56:57], -v[85:86]
	v_fma_f64 v[40:41], v[108:109], -0.5, v[40:41]
	v_add_f64 v[66:67], v[66:67], -v[80:81]
	v_add_f64 v[58:59], v[62:63], v[58:59]
	v_fma_f64 v[62:63], v[70:71], s[10:11], v[87:88]
	v_add_f64 v[80:81], v[54:55], -v[64:65]
	v_add_f64 v[85:86], v[118:119], -v[76:77]
	v_add_f64 v[87:88], v[104:105], v[64:65]
	v_fma_f64 v[104:105], v[56:57], s[12:13], v[97:98]
	v_fma_f64 v[97:98], v[56:57], s[4:5], v[97:98]
	v_add_f64 v[54:55], v[64:65], -v[54:55]
	v_add_f64 v[64:65], v[76:77], -v[118:119]
	v_fma_f64 v[108:109], v[66:67], s[4:5], v[40:41]
	v_fma_f64 v[40:41], v[66:67], s[12:13], v[40:41]
	v_add_f64 v[93:94], v[110:111], v[114:115]
	v_fma_f64 v[52:53], v[70:71], s[6:7], v[52:53]
	v_add_f64 v[70:71], v[80:81], v[85:86]
	;; [unrolled: 2-line block ×4, first 2 shown]
	v_fma_f64 v[64:65], v[56:57], s[10:11], v[108:109]
	v_fma_f64 v[40:41], v[56:57], s[6:7], v[40:41]
	;; [unrolled: 1-line block ×6, first 2 shown]
	v_add_f64 v[58:59], v[76:77], v[118:119]
	v_fma_f64 v[68:69], v[70:71], s[14:15], v[80:81]
	ds_write2_b64 v101, v[158:159], v[160:161] offset1:125
	v_fma_f64 v[66:67], v[70:71], s[14:15], v[66:67]
	v_fma_f64 v[64:65], v[54:55], s[14:15], v[64:65]
	;; [unrolled: 1-line block ×3, first 2 shown]
	ds_write2_b64 v148, v[106:107], v[95:96] offset0:104 offset1:229
	ds_write2_b64 v129, v[74:75], v[91:92] offset0:98 offset1:223
	;; [unrolled: 1-line block ×3, first 2 shown]
	ds_write_b64 v124, v[89:90] offset:14000
	ds_write2_b64 v174, v[83:84], v[56:57] offset0:83 offset1:208
	ds_write2_b64 v175, v[62:63], v[52:53] offset0:77 offset1:202
	ds_write_b64 v99, v[60:61] offset:19000
	ds_write2_b64 v177, v[58:59], v[68:69] offset0:68 offset1:193
	ds_write2_b64 v178, v[64:65], v[40:41] offset0:62 offset1:187
	ds_write_b64 v176, v[66:67] offset:24000
	s_waitcnt lgkmcnt(0)
	s_barrier
	s_and_saveexec_b64 s[16:17], vcc
	s_cbranch_execz .LBB0_13
; %bb.12:
	v_lshlrev_b32_e32 v81, 2, v132
	v_lshlrev_b64 v[40:41], 4, v[81:82]
	v_mov_b32_e32 v70, s9
	v_add_co_u32_e32 v62, vcc, s8, v40
	v_addc_co_u32_e32 v63, vcc, v70, v41, vcc
	v_lshlrev_b32_e32 v81, 2, v136
	v_add_co_u32_e32 v40, vcc, 0x26c0, v62
	v_lshlrev_b64 v[58:59], 4, v[81:82]
	v_addc_co_u32_e32 v41, vcc, 0, v63, vcc
	v_add_co_u32_e32 v60, vcc, s8, v58
	s_movk_i32 s9, 0x26c0
	v_addc_co_u32_e32 v61, vcc, v70, v59, vcc
	v_add_co_u32_e32 v58, vcc, s9, v60
	s_movk_i32 s1, 0x2000
	v_addc_co_u32_e32 v59, vcc, 0, v61, vcc
	v_add_co_u32_e32 v60, vcc, s1, v60
	v_addc_co_u32_e32 v61, vcc, 0, v61, vcc
	global_load_dwordx4 v[50:53], v[40:41], off offset:32
	global_load_dwordx4 v[54:57], v[40:41], off offset:16
	global_load_dwordx4 v[71:74], v[58:59], off offset:32
	global_load_dwordx4 v[83:86], v[58:59], off offset:16
	global_load_dwordx4 v[87:90], v[60:61], off offset:1728
	v_add_co_u32_e32 v60, vcc, 0x2000, v62
	v_addc_co_u32_e32 v61, vcc, 0, v63, vcc
	global_load_dwordx4 v[91:94], v[58:59], off offset:48
	global_load_dwordx4 v[95:98], v[60:61], off offset:1728
	;; [unrolled: 1-line block ×3, first 2 shown]
	v_lshlrev_b32_e32 v81, 2, v135
	v_lshlrev_b64 v[58:59], 4, v[81:82]
	ds_read2_b64 v[60:63], v147 offset0:86 offset1:211
	ds_read2_b64 v[108:111], v148 offset0:104 offset1:229
	;; [unrolled: 1-line block ×3, first 2 shown]
	ds_read_b64 v[40:41], v101 offset:24000
	ds_read2_b64 v[66:69], v146 offset0:116 offset1:241
	ds_read2_b64 v[118:121], v145 offset0:92 offset1:217
	;; [unrolled: 1-line block ×3, first 2 shown]
	v_add_co_u32_e32 v64, vcc, s8, v58
	v_addc_co_u32_e32 v65, vcc, v70, v59, vcc
	v_add_co_u32_e32 v58, vcc, s9, v64
	v_addc_co_u32_e32 v59, vcc, 0, v65, vcc
	;; [unrolled: 2-line block ×3, first 2 shown]
	global_load_dwordx4 v[126:129], v[64:65], off offset:1728
	global_load_dwordx4 v[135:138], v[58:59], off offset:48
	;; [unrolled: 1-line block ×4, first 2 shown]
	s_waitcnt vmcnt(11)
	v_mul_f64 v[64:65], v[44:45], v[52:53]
	s_waitcnt vmcnt(10)
	v_mul_f64 v[58:59], v[12:13], v[56:57]
	s_waitcnt lgkmcnt(6)
	v_mul_f64 v[56:57], v[60:61], v[56:57]
	s_waitcnt vmcnt(8)
	v_mul_f64 v[75:76], v[38:39], v[85:86]
	s_waitcnt vmcnt(7)
	v_mul_f64 v[80:81], v[46:47], v[89:90]
	v_mul_f64 v[139:140], v[42:43], v[73:74]
	s_waitcnt lgkmcnt(1)
	v_mul_f64 v[85:86], v[120:121], v[85:86]
	s_waitcnt vmcnt(6)
	v_mul_f64 v[152:153], v[34:35], v[93:94]
	v_mul_f64 v[73:74], v[112:113], v[73:74]
	s_waitcnt vmcnt(5)
	v_mul_f64 v[154:155], v[48:49], v[97:98]
	s_waitcnt vmcnt(4)
	v_mul_f64 v[156:157], v[116:117], v[106:107]
	v_mul_f64 v[97:98], v[110:111], v[97:98]
	;; [unrolled: 1-line block ×4, first 2 shown]
	v_fma_f64 v[58:59], v[54:55], v[60:61], -v[58:59]
	v_fma_f64 v[60:61], v[50:51], v[114:115], -v[64:65]
	v_fma_f64 v[12:13], v[12:13], v[54:55], v[56:57]
	v_fma_f64 v[64:65], v[87:88], v[108:109], -v[80:81]
	s_waitcnt lgkmcnt(0)
	v_fma_f64 v[80:81], v[91:92], v[124:125], -v[152:153]
	v_fma_f64 v[152:153], v[38:39], v[83:84], v[85:86]
	v_fma_f64 v[158:159], v[42:43], v[71:72], v[73:74]
	v_fma_f64 v[38:39], v[95:96], v[110:111], -v[154:155]
	v_fma_f64 v[40:41], v[104:105], v[40:41], -v[156:157]
	v_fma_f64 v[54:55], v[48:49], v[95:96], v[97:98]
	v_fma_f64 v[73:74], v[116:117], v[104:105], v[106:107]
	v_mul_f64 v[89:90], v[108:109], v[89:90]
	v_fma_f64 v[50:51], v[44:45], v[50:51], v[52:53]
	v_add_f64 v[44:45], v[58:59], v[60:61]
	v_add_f64 v[85:86], v[58:59], -v[60:61]
	v_add_f64 v[52:53], v[58:59], -v[38:39]
	v_add_f64 v[95:96], v[38:39], v[40:41]
	v_add_f64 v[56:57], v[60:61], -v[40:41]
	v_add_f64 v[108:109], v[54:55], v[73:74]
	v_add_f64 v[104:105], v[54:55], -v[73:74]
	v_add_f64 v[42:43], v[12:13], -v[50:51]
	v_add_f64 v[114:115], v[38:39], v[66:67]
	v_fma_f64 v[44:45], v[44:45], -0.5, v[66:67]
	v_add_f64 v[106:107], v[38:39], -v[58:59]
	v_fma_f64 v[66:67], v[95:96], -0.5, v[66:67]
	v_add_f64 v[110:111], v[40:41], -v[60:61]
	;; [unrolled: 2-line block ×3, first 2 shown]
	v_add_f64 v[154:155], v[50:51], -v[73:74]
	v_add_f64 v[38:39], v[38:39], -v[40:41]
	v_add_f64 v[156:157], v[52:53], v[56:57]
	v_add_f64 v[52:53], v[58:59], v[114:115]
	v_fma_f64 v[56:57], v[104:105], s[4:5], v[44:45]
	v_fma_f64 v[44:45], v[104:105], s[12:13], v[44:45]
	v_fma_f64 v[58:59], v[42:43], s[12:13], v[66:67]
	v_fma_f64 v[66:67], v[42:43], s[4:5], v[66:67]
	v_fma_f64 v[114:115], v[85:86], s[4:5], v[95:96]
	v_add_f64 v[48:49], v[12:13], v[50:51]
	v_add_f64 v[106:107], v[106:107], v[110:111]
	;; [unrolled: 1-line block ×4, first 2 shown]
	v_fma_f64 v[60:61], v[42:43], s[6:7], v[56:57]
	v_fma_f64 v[42:43], v[42:43], s[10:11], v[44:45]
	;; [unrolled: 1-line block ×5, first 2 shown]
	v_add_f64 v[97:98], v[64:65], v[80:81]
	v_fma_f64 v[104:105], v[48:49], -0.5, v[4:5]
	v_add_f64 v[56:57], v[40:41], v[52:53]
	v_add_f64 v[4:5], v[4:5], v[54:55]
	v_fma_f64 v[52:53], v[106:107], s[14:15], v[42:43]
	v_fma_f64 v[71:72], v[71:72], v[112:113], -v[139:140]
	v_fma_f64 v[48:49], v[156:157], s[14:15], v[58:59]
	v_fma_f64 v[42:43], v[110:111], s[14:15], v[66:67]
	v_mul_f64 v[58:59], v[124:125], v[93:94]
	v_fma_f64 v[66:67], v[83:84], v[120:121], -v[75:76]
	v_fma_f64 v[114:115], v[85:86], s[12:13], v[95:96]
	ds_read2_b64 v[93:96], v143 offset0:122 offset1:247
	v_add_f64 v[108:109], v[54:55], -v[12:13]
	v_fma_f64 v[40:41], v[106:107], s[14:15], v[60:61]
	v_add_f64 v[75:76], v[152:153], -v[158:159]
	v_fma_f64 v[87:88], v[46:47], v[87:88], v[89:90]
	s_waitcnt lgkmcnt(0)
	v_fma_f64 v[54:55], v[97:98], -0.5, v[95:96]
	v_fma_f64 v[91:92], v[34:35], v[91:92], v[58:59]
	v_add_f64 v[34:35], v[73:74], -v[50:51]
	v_fma_f64 v[46:47], v[38:39], s[12:13], v[104:105]
	v_fma_f64 v[58:59], v[38:39], s[4:5], v[104:105]
	v_add_f64 v[4:5], v[12:13], v[4:5]
	v_add_f64 v[12:13], v[66:67], -v[64:65]
	v_add_f64 v[60:61], v[71:72], -v[80:81]
	v_fma_f64 v[83:84], v[75:76], s[12:13], v[54:55]
	v_add_f64 v[89:90], v[87:88], -v[91:92]
	v_fma_f64 v[38:39], v[38:39], s[6:7], v[114:115]
	v_add_f64 v[34:35], v[108:109], v[34:35]
	v_fma_f64 v[97:98], v[85:86], s[10:11], v[46:47]
	v_fma_f64 v[58:59], v[85:86], s[6:7], v[58:59]
	v_add_f64 v[4:5], v[4:5], v[50:51]
	v_add_f64 v[12:13], v[12:13], v[60:61]
	;; [unrolled: 1-line block ×3, first 2 shown]
	v_fma_f64 v[83:84], v[89:90], s[6:7], v[83:84]
	v_fma_f64 v[46:47], v[110:111], s[14:15], v[38:39]
	;; [unrolled: 1-line block ×4, first 2 shown]
	v_add_f64 v[97:98], v[87:88], v[91:92]
	v_fma_f64 v[50:51], v[34:35], s[14:15], v[58:59]
	v_add_f64 v[54:55], v[4:5], v[73:74]
	v_fma_f64 v[4:5], v[60:61], -0.5, v[95:96]
	v_add_f64 v[34:35], v[64:65], v[95:96]
	v_fma_f64 v[60:61], v[12:13], s[14:15], v[83:84]
	v_fma_f64 v[58:59], v[89:90], s[10:11], v[85:86]
	v_add_f64 v[73:74], v[64:65], -v[66:67]
	v_fma_f64 v[83:84], v[97:98], -0.5, v[30:31]
	v_add_f64 v[116:117], v[66:67], -v[71:72]
	v_add_f64 v[85:86], v[80:81], -v[71:72]
	v_fma_f64 v[95:96], v[89:90], s[4:5], v[4:5]
	v_fma_f64 v[4:5], v[89:90], s[12:13], v[4:5]
	v_add_f64 v[34:35], v[66:67], v[34:35]
	v_add_f64 v[66:67], v[152:153], -v[87:88]
	v_add_f64 v[89:90], v[158:159], -v[91:92]
	;; [unrolled: 1-line block ×3, first 2 shown]
	v_fma_f64 v[64:65], v[116:117], s[4:5], v[83:84]
	v_fma_f64 v[83:84], v[116:117], s[12:13], v[83:84]
	v_add_f64 v[73:74], v[73:74], v[85:86]
	v_fma_f64 v[85:86], v[75:76], s[6:7], v[95:96]
	v_fma_f64 v[4:5], v[75:76], s[10:11], v[4:5]
	v_add_f64 v[75:76], v[152:153], v[158:159]
	v_add_f64 v[95:96], v[71:72], v[34:35]
	;; [unrolled: 1-line block ×3, first 2 shown]
	v_fma_f64 v[64:65], v[97:98], s[10:11], v[64:65]
	v_fma_f64 v[83:84], v[97:98], s[6:7], v[83:84]
	;; [unrolled: 1-line block ×5, first 2 shown]
	v_fma_f64 v[12:13], v[75:76], -0.5, v[30:31]
	v_add_f64 v[76:77], v[80:81], v[95:96]
	s_waitcnt vmcnt(2)
	v_mul_f64 v[80:81], v[32:33], v[137:138]
	v_mul_f64 v[74:75], v[22:23], v[128:129]
	v_fma_f64 v[58:59], v[89:90], s[14:15], v[64:65]
	v_fma_f64 v[64:65], v[89:90], s[14:15], v[83:84]
	ds_read2_b64 v[83:86], v142 offset0:110 offset1:235
	v_add_f64 v[104:105], v[87:88], -v[152:153]
	v_add_f64 v[106:107], v[91:92], -v[158:159]
	v_fma_f64 v[120:121], v[97:98], s[12:13], v[12:13]
	v_fma_f64 v[141:142], v[135:136], v[122:123], -v[80:81]
	v_lshlrev_b32_e32 v81, 2, v134
	v_lshlrev_b64 v[80:81], 4, v[81:82]
	v_fma_f64 v[12:13], v[97:98], s[4:5], v[12:13]
	v_add_co_u32_e32 v80, vcc, s8, v80
	v_addc_co_u32_e32 v81, vcc, v70, v81, vcc
	v_add_co_u32_e32 v70, vcc, s1, v80
	v_addc_co_u32_e32 v71, vcc, 0, v81, vcc
	s_waitcnt vmcnt(0)
	v_mul_f64 v[124:125], v[36:37], v[150:151]
	s_waitcnt lgkmcnt(0)
	v_fma_f64 v[139:140], v[126:127], v[85:86], -v[74:75]
	v_mul_f64 v[74:75], v[26:27], v[146:147]
	global_load_dwordx4 v[95:98], v[70:71], off offset:1728
	v_add_co_u32_e32 v70, vcc, s9, v80
	v_add_f64 v[30:31], v[30:31], v[87:88]
	ds_read2_b64 v[87:90], v133 offset0:80 offset1:205
	v_addc_co_u32_e32 v71, vcc, 0, v81, vcc
	v_add_f64 v[4:5], v[104:105], v[106:107]
	global_load_dwordx4 v[104:107], v[70:71], off offset:48
	global_load_dwordx4 v[108:111], v[70:71], off offset:32
	;; [unrolled: 1-line block ×3, first 2 shown]
	v_mul_f64 v[150:151], v[118:119], v[150:151]
	s_waitcnt lgkmcnt(0)
	v_mul_f64 v[146:147], v[89:90], v[146:147]
	v_fma_f64 v[80:81], v[148:149], v[118:119], -v[124:125]
	v_mul_f64 v[70:71], v[85:86], v[128:129]
	v_mul_f64 v[85:86], v[122:123], v[137:138]
	v_fma_f64 v[89:90], v[144:145], v[89:90], -v[74:75]
	v_add_f64 v[30:31], v[152:153], v[30:31]
	v_fma_f64 v[12:13], v[116:117], s[6:7], v[12:13]
	v_fma_f64 v[36:37], v[36:37], v[148:149], v[150:151]
	;; [unrolled: 1-line block ×3, first 2 shown]
	v_add_f64 v[26:27], v[139:140], v[141:142]
	v_fma_f64 v[128:129], v[22:23], v[126:127], v[70:71]
	v_fma_f64 v[143:144], v[32:33], v[135:136], v[85:86]
	v_add_f64 v[22:23], v[80:81], v[89:90]
	v_fma_f64 v[74:75], v[116:117], s[10:11], v[120:121]
	v_add_f64 v[30:31], v[30:31], v[158:159]
	v_fma_f64 v[70:71], v[4:5], s[14:15], v[12:13]
	v_add_f64 v[85:86], v[36:37], -v[137:138]
	v_fma_f64 v[26:27], v[26:27], -0.5, v[93:94]
	v_add_f64 v[116:117], v[89:90], -v[141:142]
	v_add_f64 v[12:13], v[128:129], -v[143:144]
	v_fma_f64 v[22:23], v[22:23], -0.5, v[93:94]
	v_fma_f64 v[32:33], v[4:5], s[14:15], v[74:75]
	v_add_f64 v[4:5], v[80:81], -v[139:140]
	v_add_f64 v[74:75], v[30:31], v[91:92]
	v_add_f64 v[91:92], v[128:129], v[143:144]
	v_fma_f64 v[30:31], v[85:86], s[12:13], v[26:27]
	v_fma_f64 v[26:27], v[85:86], s[4:5], v[26:27]
	v_add_f64 v[118:119], v[139:140], -v[80:81]
	v_add_f64 v[120:121], v[141:142], -v[89:90]
	v_fma_f64 v[122:123], v[12:13], s[4:5], v[22:23]
	v_add_f64 v[93:94], v[139:140], v[93:94]
	v_add_f64 v[4:5], v[4:5], v[116:117]
	v_fma_f64 v[124:125], v[91:92], -0.5, v[28:29]
	v_fma_f64 v[30:31], v[12:13], s[6:7], v[30:31]
	v_fma_f64 v[26:27], v[12:13], s[10:11], v[26:27]
	v_add_f64 v[145:146], v[80:81], -v[89:90]
	v_add_f64 v[133:134], v[118:119], v[120:121]
	v_fma_f64 v[91:92], v[85:86], s[6:7], v[122:123]
	v_add_f64 v[93:94], v[80:81], v[93:94]
	v_fma_f64 v[116:117], v[12:13], s[12:13], v[22:23]
	v_add_f64 v[118:119], v[36:37], -v[128:129]
	v_add_f64 v[120:121], v[137:138], -v[143:144]
	v_fma_f64 v[22:23], v[4:5], s[14:15], v[26:27]
	v_add_co_u32_e32 v26, vcc, s1, v78
	v_addc_co_u32_e32 v27, vcc, 0, v79, vcc
	v_fma_f64 v[80:81], v[4:5], s[14:15], v[30:31]
	v_fma_f64 v[12:13], v[133:134], s[14:15], v[91:92]
	v_add_f64 v[30:31], v[89:90], v[93:94]
	global_load_dwordx4 v[89:92], v[26:27], off offset:1728
	v_add_co_u32_e32 v26, vcc, s9, v78
	v_addc_co_u32_e32 v27, vcc, 0, v79, vcc
	v_add_f64 v[135:136], v[139:140], -v[141:142]
	v_fma_f64 v[122:123], v[145:146], s[4:5], v[124:125]
	v_add_f64 v[126:127], v[36:37], v[137:138]
	v_fma_f64 v[4:5], v[85:86], s[10:11], v[116:117]
	v_add_f64 v[93:94], v[118:119], v[120:121]
	global_load_dwordx4 v[116:119], v[26:27], off offset:48
	v_fma_f64 v[147:148], v[145:146], s[12:13], v[124:125]
	v_add_f64 v[149:150], v[128:129], -v[36:37]
	v_add_f64 v[151:152], v[143:144], -v[137:138]
	v_fma_f64 v[85:86], v[135:136], s[10:11], v[122:123]
	v_fma_f64 v[139:140], v[126:127], -0.5, v[28:29]
	global_load_dwordx4 v[120:123], v[26:27], off offset:32
	global_load_dwordx4 v[124:127], v[26:27], off offset:16
	v_fma_f64 v[26:27], v[133:134], s[14:15], v[4:5]
	v_add_f64 v[30:31], v[141:142], v[30:31]
	v_fma_f64 v[4:5], v[135:136], s[6:7], v[147:148]
	v_add_f64 v[28:29], v[28:29], v[128:129]
	v_add_f64 v[141:142], v[149:150], v[151:152]
	v_fma_f64 v[78:79], v[93:94], s[14:15], v[85:86]
	v_fma_f64 v[153:154], v[135:136], s[12:13], v[139:140]
	;; [unrolled: 1-line block ×3, first 2 shown]
	s_waitcnt vmcnt(7)
	v_mul_f64 v[139:140], v[20:21], v[97:98]
	s_waitcnt vmcnt(6)
	v_mul_f64 v[149:150], v[18:19], v[106:107]
	ds_read2_b64 v[133:136], v130 offset0:98 offset1:223
	s_waitcnt vmcnt(4)
	v_mul_f64 v[151:152], v[10:11], v[114:115]
	ds_read2_b64 v[128:131], v131 offset0:68 offset1:193
	v_add_f64 v[28:29], v[36:37], v[28:29]
	v_fma_f64 v[147:148], v[145:146], s[10:11], v[153:154]
	v_mul_f64 v[153:154], v[24:25], v[110:111]
	v_fma_f64 v[145:146], v[145:146], s[6:7], v[85:86]
	v_fma_f64 v[139:140], v[95:96], v[83:84], -v[139:140]
	s_waitcnt lgkmcnt(1)
	v_mul_f64 v[85:86], v[135:136], v[114:115]
	v_mul_f64 v[110:111], v[87:88], v[110:111]
	s_waitcnt lgkmcnt(0)
	v_fma_f64 v[114:115], v[104:105], v[130:131], -v[149:150]
	v_fma_f64 v[135:136], v[112:113], v[135:136], -v[151:152]
	v_mul_f64 v[36:37], v[83:84], v[97:98]
	v_fma_f64 v[87:88], v[108:109], v[87:88], -v[153:154]
	v_mul_f64 v[97:98], v[130:131], v[106:107]
	v_fma_f64 v[44:45], v[156:157], s[14:15], v[44:45]
	v_fma_f64 v[106:107], v[10:11], v[112:113], v[85:86]
	v_fma_f64 v[108:109], v[24:25], v[108:109], v[110:111]
	v_add_f64 v[10:11], v[139:140], v[114:115]
	v_add_f64 v[110:111], v[135:136], -v[139:140]
	v_fma_f64 v[36:37], v[20:21], v[95:96], v[36:37]
	v_add_f64 v[112:113], v[87:88], -v[114:115]
	v_fma_f64 v[95:96], v[18:19], v[104:105], v[97:98]
	v_add_f64 v[18:19], v[135:136], v[87:88]
	ds_read2_b64 v[83:86], v101 offset1:125
	v_add_f64 v[97:98], v[106:107], -v[108:109]
	v_fma_f64 v[20:21], v[93:94], s[14:15], v[4:5]
	v_add_f64 v[4:5], v[28:29], v[137:138]
	v_fma_f64 v[24:25], v[141:142], s[14:15], v[145:146]
	s_waitcnt lgkmcnt(0)
	v_fma_f64 v[104:105], v[10:11], -0.5, v[85:86]
	v_add_f64 v[28:29], v[36:37], -v[95:96]
	v_fma_f64 v[18:19], v[18:19], -0.5, v[85:86]
	v_add_f64 v[93:94], v[110:111], v[112:113]
	v_add_f64 v[112:113], v[36:37], v[95:96]
	;; [unrolled: 1-line block ×3, first 2 shown]
	v_fma_f64 v[10:11], v[141:142], s[14:15], v[147:148]
	v_add_f64 v[130:131], v[139:140], -v[135:136]
	v_fma_f64 v[110:111], v[97:98], s[12:13], v[104:105]
	v_fma_f64 v[104:105], v[97:98], s[4:5], v[104:105]
	v_add_f64 v[137:138], v[114:115], -v[87:88]
	v_fma_f64 v[141:142], v[28:29], s[4:5], v[18:19]
	v_fma_f64 v[18:19], v[28:29], s[12:13], v[18:19]
	v_fma_f64 v[112:113], v[112:113], -0.5, v[2:3]
	v_add_f64 v[145:146], v[135:136], -v[87:88]
	v_add_f64 v[85:86], v[135:136], v[85:86]
	v_fma_f64 v[110:111], v[28:29], s[6:7], v[110:111]
	v_fma_f64 v[104:105], v[28:29], s[10:11], v[104:105]
	v_add_f64 v[130:131], v[130:131], v[137:138]
	v_fma_f64 v[135:136], v[97:98], s[6:7], v[141:142]
	v_fma_f64 v[97:98], v[97:98], s[10:11], v[18:19]
	v_add_f64 v[137:138], v[106:107], -v[36:37]
	v_add_f64 v[141:142], v[108:109], -v[95:96]
	;; [unrolled: 1-line block ×3, first 2 shown]
	v_fma_f64 v[147:148], v[145:146], s[4:5], v[112:113]
	v_add_f64 v[85:86], v[87:88], v[85:86]
	v_add_f64 v[28:29], v[4:5], v[143:144]
	v_fma_f64 v[87:88], v[93:94], s[14:15], v[110:111]
	v_fma_f64 v[4:5], v[93:94], s[14:15], v[104:105]
	;; [unrolled: 1-line block ×4, first 2 shown]
	v_add_f64 v[104:105], v[137:138], v[141:142]
	v_fma_f64 v[110:111], v[139:140], s[10:11], v[147:148]
	s_waitcnt vmcnt(3)
	v_mul_f64 v[130:131], v[6:7], v[91:92]
	v_add_f64 v[97:98], v[114:115], v[85:86]
	s_waitcnt vmcnt(2)
	v_mul_f64 v[114:115], v[16:17], v[118:119]
	v_add_f64 v[135:136], v[36:37], -v[106:107]
	v_add_f64 v[137:138], v[95:96], -v[108:109]
	v_add_f64 v[141:142], v[106:107], v[108:109]
	s_waitcnt vmcnt(1)
	v_mul_f64 v[143:144], v[62:63], v[122:123]
	v_fma_f64 v[85:86], v[104:105], s[14:15], v[110:111]
	v_fma_f64 v[110:111], v[89:90], v[68:69], -v[130:131]
	s_waitcnt vmcnt(0)
	v_mul_f64 v[130:131], v[133:134], v[126:127]
	v_fma_f64 v[147:148], v[116:117], v[128:129], -v[114:115]
	v_mul_f64 v[126:127], v[8:9], v[126:127]
	v_add_f64 v[114:115], v[135:136], v[137:138]
	v_fma_f64 v[135:136], v[141:142], -0.5, v[2:3]
	v_mul_f64 v[122:123], v[14:15], v[122:123]
	v_fma_f64 v[14:15], v[14:15], v[120:121], v[143:144]
	v_mul_f64 v[68:69], v[68:69], v[91:92]
	v_fma_f64 v[130:131], v[8:9], v[124:125], v[130:131]
	v_add_f64 v[8:9], v[110:111], v[147:148]
	v_mul_f64 v[91:92], v[128:129], v[118:119]
	v_add_f64 v[2:3], v[2:3], v[36:37]
	v_fma_f64 v[112:113], v[145:146], s[12:13], v[112:113]
	v_fma_f64 v[118:119], v[139:140], s[12:13], v[135:136]
	v_fma_f64 v[36:37], v[124:125], v[133:134], -v[126:127]
	v_fma_f64 v[62:63], v[120:121], v[62:63], -v[122:123]
	v_add_f64 v[120:121], v[130:131], -v[14:15]
	v_fma_f64 v[8:9], v[8:9], -0.5, v[83:84]
	v_fma_f64 v[6:7], v[6:7], v[89:90], v[68:69]
	v_fma_f64 v[68:69], v[16:17], v[116:117], v[91:92]
	v_add_f64 v[2:3], v[106:107], v[2:3]
	v_fma_f64 v[112:113], v[139:140], s[6:7], v[112:113]
	v_fma_f64 v[16:17], v[139:140], s[4:5], v[135:136]
	;; [unrolled: 1-line block ×3, first 2 shown]
	v_add_f64 v[91:92], v[36:37], -v[110:111]
	v_add_f64 v[106:107], v[62:63], -v[147:148]
	v_add_f64 v[116:117], v[36:37], v[62:63]
	v_fma_f64 v[118:119], v[120:121], s[12:13], v[8:9]
	v_add_f64 v[122:123], v[6:7], -v[68:69]
	v_add_f64 v[108:109], v[2:3], v[108:109]
	v_fma_f64 v[8:9], v[120:121], s[4:5], v[8:9]
	v_fma_f64 v[124:125], v[145:146], s[6:7], v[16:17]
	;; [unrolled: 1-line block ×4, first 2 shown]
	v_fma_f64 v[89:90], v[116:117], -0.5, v[83:84]
	v_add_f64 v[104:105], v[91:92], v[106:107]
	v_fma_f64 v[106:107], v[122:123], s[6:7], v[118:119]
	v_add_f64 v[95:96], v[108:109], v[95:96]
	v_fma_f64 v[108:109], v[122:123], s[10:11], v[8:9]
	v_fma_f64 v[91:92], v[114:115], s[14:15], v[124:125]
	v_add_f64 v[112:113], v[110:111], -v[36:37]
	v_add_f64 v[114:115], v[147:148], -v[62:63]
	v_fma_f64 v[116:117], v[122:123], s[4:5], v[89:90]
	v_add_f64 v[118:119], v[6:7], v[68:69]
	v_fma_f64 v[8:9], v[104:105], s[14:15], v[106:107]
	v_add_f64 v[83:84], v[110:111], v[83:84]
	;; [unrolled: 2-line block ×4, first 2 shown]
	v_fma_f64 v[112:113], v[120:121], s[6:7], v[116:117]
	v_fma_f64 v[114:115], v[118:119], -0.5, v[0:1]
	v_add_f64 v[116:117], v[36:37], -v[62:63]
	v_add_f64 v[36:37], v[36:37], v[83:84]
	v_add_f64 v[83:84], v[110:111], -v[147:148]
	v_fma_f64 v[104:105], v[104:105], -0.5, v[0:1]
	v_add_f64 v[0:1], v[0:1], v[6:7]
	v_fma_f64 v[89:90], v[120:121], s[10:11], v[89:90]
	v_add_f64 v[110:111], v[130:131], -v[6:7]
	v_add_f64 v[118:119], v[14:15], -v[68:69]
	v_fma_f64 v[120:121], v[116:117], s[4:5], v[114:115]
	v_fma_f64 v[114:115], v[116:117], s[12:13], v[114:115]
	v_add_f64 v[6:7], v[6:7], -v[130:131]
	v_add_f64 v[122:123], v[68:69], -v[14:15]
	v_fma_f64 v[124:125], v[83:84], s[12:13], v[104:105]
	v_fma_f64 v[104:105], v[83:84], s[4:5], v[104:105]
	v_add_f64 v[0:1], v[130:131], v[0:1]
	v_add_f64 v[36:37], v[62:63], v[36:37]
	v_add_f64 v[62:63], v[110:111], v[118:119]
	v_fma_f64 v[120:121], v[83:84], s[10:11], v[120:121]
	v_fma_f64 v[83:84], v[83:84], s[6:7], v[114:115]
	v_add_f64 v[122:123], v[6:7], v[122:123]
	v_fma_f64 v[124:125], v[116:117], s[10:11], v[124:125]
	v_fma_f64 v[116:117], v[116:117], s[6:7], v[104:105]
	v_add_f64 v[0:1], v[0:1], v[14:15]
	v_fma_f64 v[110:111], v[108:109], s[14:15], v[112:113]
	v_mov_b32_e32 v101, v82
	v_fma_f64 v[6:7], v[62:63], s[14:15], v[120:121]
	v_fma_f64 v[104:105], v[62:63], s[14:15], v[83:84]
	v_add_co_u32_e32 v62, vcc, s2, v102
	v_fma_f64 v[112:113], v[122:123], s[14:15], v[116:117]
	v_add_f64 v[116:117], v[0:1], v[68:69]
	v_mov_b32_e32 v0, s3
	v_addc_co_u32_e32 v63, vcc, v0, v103, vcc
	v_lshlrev_b64 v[0:1], 4, v[100:101]
	v_fma_f64 v[114:115], v[108:109], s[14:15], v[89:90]
	v_add_co_u32_e32 v0, vcc, v62, v0
	v_addc_co_u32_e32 v1, vcc, v63, v1, vcc
	v_add_f64 v[118:119], v[147:148], v[36:37]
	v_fma_f64 v[108:109], v[122:123], s[14:15], v[124:125]
	v_add_co_u32_e32 v14, vcc, s1, v0
	v_addc_co_u32_e32 v15, vcc, 0, v1, vcc
	v_add_co_u32_e32 v36, vcc, s0, v0
	v_addc_co_u32_e32 v37, vcc, 0, v1, vcc
	s_movk_i32 s2, 0x7000
	global_store_dwordx4 v[36:37], v[104:107], off offset:3616
	v_add_co_u32_e32 v36, vcc, s2, v0
	v_addc_co_u32_e32 v37, vcc, 0, v1, vcc
	s_mov_b32 s2, 0x9000
	global_store_dwordx4 v[36:37], v[6:9], off offset:1328
	global_store_dwordx4 v[0:1], v[116:119], off
	v_add_co_u32_e32 v6, vcc, s2, v0
	v_addc_co_u32_e32 v7, vcc, 0, v1, vcc
	s_movk_i32 s2, 0x5000
	global_store_dwordx4 v[14:15], v[112:115], off offset:1808
	global_store_dwordx4 v[6:7], v[108:111], off offset:3136
	global_store_dwordx4 v[0:1], v[95:98], off offset:2000
	global_store_dwordx4 v[14:15], v[91:94], off offset:3808
	v_add_co_u32_e32 v6, vcc, s2, v0
	v_addc_co_u32_e32 v7, vcc, 0, v1, vcc
	s_mov_b32 s2, 0xa000
	global_store_dwordx4 v[6:7], v[2:5], off offset:1520
	global_store_dwordx4 v[36:37], v[85:88], off offset:3328
	v_add_co_u32_e32 v2, vcc, s2, v0
	v_addc_co_u32_e32 v3, vcc, 0, v1, vcc
	s_movk_i32 s2, 0x3000
	v_add_co_u32_e32 v4, vcc, s2, v0
	v_addc_co_u32_e32 v5, vcc, 0, v1, vcc
	s_mov_b32 s2, 0x8000
	global_store_dwordx4 v[2:3], v[16:19], off offset:1040
	global_store_dwordx4 v[0:1], v[28:31], off offset:4000
	;; [unrolled: 1-line block ×4, first 2 shown]
	v_add_co_u32_e32 v6, vcc, s2, v0
	v_addc_co_u32_e32 v7, vcc, 0, v1, vcc
	s_movk_i32 s2, 0x1000
	global_store_dwordx4 v[6:7], v[78:81], off offset:1232
	global_store_dwordx4 v[2:3], v[10:13], off offset:3040
	v_add_co_u32_e32 v2, vcc, s2, v0
	v_addc_co_u32_e32 v3, vcc, 0, v1, vcc
	s_movk_i32 s2, 0x6000
	global_store_dwordx4 v[2:3], v[74:77], off offset:1904
	global_store_dwordx4 v[4:5], v[70:73], off offset:3712
	v_add_co_u32_e32 v2, vcc, s2, v0
	v_addc_co_u32_e32 v3, vcc, 0, v1, vcc
	s_mov_b32 s3, 0xd1b71759
	global_store_dwordx4 v[2:3], v[64:67], off offset:1424
	global_store_dwordx4 v[6:7], v[58:61], off offset:3232
	v_mul_hi_u32 v2, v132, s3
	s_mov_b32 s2, 0xb000
	v_add_co_u32_e32 v0, vcc, s2, v0
	v_addc_co_u32_e32 v1, vcc, 0, v1, vcc
	global_store_dwordx4 v[0:1], v[32:35], off offset:944
	v_lshrrev_b32_e32 v0, 9, v2
	s_movk_i32 s2, 0x9c4
	v_mad_u32_u24 v81, v0, s2, v132
	v_lshlrev_b64 v[0:1], 4, v[81:82]
	v_add_co_u32_e32 v0, vcc, v62, v0
	v_addc_co_u32_e32 v1, vcc, v63, v1, vcc
	v_add_co_u32_e32 v2, vcc, s1, v0
	v_addc_co_u32_e32 v3, vcc, 0, v1, vcc
	global_store_dwordx4 v[2:3], v[50:53], off offset:1808
	v_add_co_u32_e32 v2, vcc, s0, v0
	v_addc_co_u32_e32 v3, vcc, 0, v1, vcc
	global_store_dwordx4 v[2:3], v[46:49], off offset:3616
	v_add_co_u32_e32 v2, vcc, 0x7000, v0
	v_addc_co_u32_e32 v3, vcc, 0, v1, vcc
	global_store_dwordx4 v[0:1], v[54:57], off
	v_add_co_u32_e32 v0, vcc, 0x9000, v0
	v_addc_co_u32_e32 v1, vcc, 0, v1, vcc
	global_store_dwordx4 v[2:3], v[42:45], off offset:1328
	global_store_dwordx4 v[0:1], v[38:41], off offset:3136
.LBB0_13:
	s_endpgm
	.section	.rodata,"a",@progbits
	.p2align	6, 0x0
	.amdhsa_kernel fft_rtc_back_len3125_factors_5_5_5_5_5_wgs_125_tpt_125_halfLds_dp_ip_CI_unitstride_sbrr_dirReg
		.amdhsa_group_segment_fixed_size 0
		.amdhsa_private_segment_fixed_size 0
		.amdhsa_kernarg_size 88
		.amdhsa_user_sgpr_count 6
		.amdhsa_user_sgpr_private_segment_buffer 1
		.amdhsa_user_sgpr_dispatch_ptr 0
		.amdhsa_user_sgpr_queue_ptr 0
		.amdhsa_user_sgpr_kernarg_segment_ptr 1
		.amdhsa_user_sgpr_dispatch_id 0
		.amdhsa_user_sgpr_flat_scratch_init 0
		.amdhsa_user_sgpr_private_segment_size 0
		.amdhsa_uses_dynamic_stack 0
		.amdhsa_system_sgpr_private_segment_wavefront_offset 0
		.amdhsa_system_sgpr_workgroup_id_x 1
		.amdhsa_system_sgpr_workgroup_id_y 0
		.amdhsa_system_sgpr_workgroup_id_z 0
		.amdhsa_system_sgpr_workgroup_info 0
		.amdhsa_system_vgpr_workitem_id 0
		.amdhsa_next_free_vgpr 195
		.amdhsa_next_free_sgpr 22
		.amdhsa_reserve_vcc 1
		.amdhsa_reserve_flat_scratch 0
		.amdhsa_float_round_mode_32 0
		.amdhsa_float_round_mode_16_64 0
		.amdhsa_float_denorm_mode_32 3
		.amdhsa_float_denorm_mode_16_64 3
		.amdhsa_dx10_clamp 1
		.amdhsa_ieee_mode 1
		.amdhsa_fp16_overflow 0
		.amdhsa_exception_fp_ieee_invalid_op 0
		.amdhsa_exception_fp_denorm_src 0
		.amdhsa_exception_fp_ieee_div_zero 0
		.amdhsa_exception_fp_ieee_overflow 0
		.amdhsa_exception_fp_ieee_underflow 0
		.amdhsa_exception_fp_ieee_inexact 0
		.amdhsa_exception_int_div_zero 0
	.end_amdhsa_kernel
	.text
.Lfunc_end0:
	.size	fft_rtc_back_len3125_factors_5_5_5_5_5_wgs_125_tpt_125_halfLds_dp_ip_CI_unitstride_sbrr_dirReg, .Lfunc_end0-fft_rtc_back_len3125_factors_5_5_5_5_5_wgs_125_tpt_125_halfLds_dp_ip_CI_unitstride_sbrr_dirReg
                                        ; -- End function
	.section	.AMDGPU.csdata,"",@progbits
; Kernel info:
; codeLenInByte = 19988
; NumSgprs: 26
; NumVgprs: 195
; ScratchSize: 0
; MemoryBound: 1
; FloatMode: 240
; IeeeMode: 1
; LDSByteSize: 0 bytes/workgroup (compile time only)
; SGPRBlocks: 3
; VGPRBlocks: 48
; NumSGPRsForWavesPerEU: 26
; NumVGPRsForWavesPerEU: 195
; Occupancy: 1
; WaveLimiterHint : 1
; COMPUTE_PGM_RSRC2:SCRATCH_EN: 0
; COMPUTE_PGM_RSRC2:USER_SGPR: 6
; COMPUTE_PGM_RSRC2:TRAP_HANDLER: 0
; COMPUTE_PGM_RSRC2:TGID_X_EN: 1
; COMPUTE_PGM_RSRC2:TGID_Y_EN: 0
; COMPUTE_PGM_RSRC2:TGID_Z_EN: 0
; COMPUTE_PGM_RSRC2:TIDIG_COMP_CNT: 0
	.type	__hip_cuid_8f189ccce77f1c8c,@object ; @__hip_cuid_8f189ccce77f1c8c
	.section	.bss,"aw",@nobits
	.globl	__hip_cuid_8f189ccce77f1c8c
__hip_cuid_8f189ccce77f1c8c:
	.byte	0                               ; 0x0
	.size	__hip_cuid_8f189ccce77f1c8c, 1

	.ident	"AMD clang version 19.0.0git (https://github.com/RadeonOpenCompute/llvm-project roc-6.4.0 25133 c7fe45cf4b819c5991fe208aaa96edf142730f1d)"
	.section	".note.GNU-stack","",@progbits
	.addrsig
	.addrsig_sym __hip_cuid_8f189ccce77f1c8c
	.amdgpu_metadata
---
amdhsa.kernels:
  - .args:
      - .actual_access:  read_only
        .address_space:  global
        .offset:         0
        .size:           8
        .value_kind:     global_buffer
      - .offset:         8
        .size:           8
        .value_kind:     by_value
      - .actual_access:  read_only
        .address_space:  global
        .offset:         16
        .size:           8
        .value_kind:     global_buffer
      - .actual_access:  read_only
        .address_space:  global
        .offset:         24
        .size:           8
        .value_kind:     global_buffer
      - .offset:         32
        .size:           8
        .value_kind:     by_value
      - .actual_access:  read_only
        .address_space:  global
        .offset:         40
        .size:           8
        .value_kind:     global_buffer
      - .actual_access:  read_only
        .address_space:  global
        .offset:         48
        .size:           8
        .value_kind:     global_buffer
      - .offset:         56
        .size:           4
        .value_kind:     by_value
      - .actual_access:  read_only
        .address_space:  global
        .offset:         64
        .size:           8
        .value_kind:     global_buffer
      - .actual_access:  read_only
        .address_space:  global
        .offset:         72
        .size:           8
        .value_kind:     global_buffer
      - .address_space:  global
        .offset:         80
        .size:           8
        .value_kind:     global_buffer
    .group_segment_fixed_size: 0
    .kernarg_segment_align: 8
    .kernarg_segment_size: 88
    .language:       OpenCL C
    .language_version:
      - 2
      - 0
    .max_flat_workgroup_size: 125
    .name:           fft_rtc_back_len3125_factors_5_5_5_5_5_wgs_125_tpt_125_halfLds_dp_ip_CI_unitstride_sbrr_dirReg
    .private_segment_fixed_size: 0
    .sgpr_count:     26
    .sgpr_spill_count: 0
    .symbol:         fft_rtc_back_len3125_factors_5_5_5_5_5_wgs_125_tpt_125_halfLds_dp_ip_CI_unitstride_sbrr_dirReg.kd
    .uniform_work_group_size: 1
    .uses_dynamic_stack: false
    .vgpr_count:     195
    .vgpr_spill_count: 0
    .wavefront_size: 64
amdhsa.target:   amdgcn-amd-amdhsa--gfx906
amdhsa.version:
  - 1
  - 2
...

	.end_amdgpu_metadata
